;; amdgpu-corpus repo=ROCm/rocFFT kind=compiled arch=gfx1030 opt=O3
	.text
	.amdgcn_target "amdgcn-amd-amdhsa--gfx1030"
	.amdhsa_code_object_version 6
	.protected	bluestein_single_fwd_len819_dim1_dp_op_CI_CI ; -- Begin function bluestein_single_fwd_len819_dim1_dp_op_CI_CI
	.globl	bluestein_single_fwd_len819_dim1_dp_op_CI_CI
	.p2align	8
	.type	bluestein_single_fwd_len819_dim1_dp_op_CI_CI,@function
bluestein_single_fwd_len819_dim1_dp_op_CI_CI: ; @bluestein_single_fwd_len819_dim1_dp_op_CI_CI
; %bb.0:
	s_load_dwordx4 s[0:3], s[4:5], 0x28
	v_mul_u32_u24_e32 v1, 0x231, v0
	v_mov_b32_e32 v125, 0
	v_lshrrev_b32_e32 v1, 16, v1
	v_add_nc_u32_e32 v124, s6, v1
	s_waitcnt lgkmcnt(0)
	v_cmp_gt_u64_e32 vcc_lo, s[0:1], v[124:125]
	s_and_saveexec_b32 s0, vcc_lo
	s_cbranch_execz .LBB0_23
; %bb.1:
	s_clause 0x1
	s_load_dwordx2 s[14:15], s[4:5], 0x0
	s_load_dwordx2 s[12:13], s[4:5], 0x38
	v_mul_lo_u16 v1, 0x75, v1
	v_sub_nc_u16 v0, v0, v1
	v_and_b32_e32 v210, 0xffff, v0
	v_cmp_gt_u16_e32 vcc_lo, 0x5b, v0
	v_lshlrev_b32_e32 v209, 4, v210
	s_and_saveexec_b32 s1, vcc_lo
	s_cbranch_execz .LBB0_3
; %bb.2:
	s_load_dwordx2 s[6:7], s[4:5], 0x18
	s_waitcnt lgkmcnt(0)
	v_add_co_u32 v18, s0, s14, v209
	v_add_co_ci_u32_e64 v19, null, s15, 0, s0
	s_clause 0x1
	global_load_dwordx4 v[0:3], v209, s[14:15]
	global_load_dwordx4 v[4:7], v209, s[14:15] offset:1456
	v_add_co_u32 v8, s0, 0x800, v18
	v_add_co_ci_u32_e64 v9, s0, 0, v19, s0
	v_add_co_u32 v16, s0, 0x1000, v18
	v_add_co_ci_u32_e64 v17, s0, 0, v19, s0
	;; [unrolled: 2-line block ×3, first 2 shown]
	v_add_co_u32 v56, s0, 0x2000, v18
	s_load_dwordx4 s[8:11], s[6:7], 0x0
	v_add_co_ci_u32_e64 v57, s0, 0, v19, s0
	v_add_co_u32 v64, s0, 0x2800, v18
	v_add_co_ci_u32_e64 v65, s0, 0, v19, s0
	s_waitcnt lgkmcnt(0)
	v_mad_u64_u32 v[12:13], null, s10, v124, 0
	v_mad_u64_u32 v[20:21], null, s8, v210, 0
	s_mul_i32 s6, s9, 0x5b0
	s_mul_hi_u32 s7, s8, 0x5b0
	s_add_i32 s7, s7, s6
	v_mov_b32_e32 v10, v13
	v_mov_b32_e32 v11, v21
	v_mad_u64_u32 v[13:14], null, s11, v124, v[10:11]
	v_mad_u64_u32 v[14:15], null, s9, v210, v[11:12]
	global_load_dwordx4 v[8:11], v[8:9], off offset:864
	v_lshlrev_b64 v[24:25], 4, v[12:13]
	v_mov_b32_e32 v21, v14
	s_clause 0x1
	global_load_dwordx4 v[12:15], v[16:17], off offset:272
	global_load_dwordx4 v[16:19], v[16:17], off offset:1728
	v_add_co_u32 v24, s0, s2, v24
	v_lshlrev_b64 v[20:21], 4, v[20:21]
	v_add_co_ci_u32_e64 v25, s0, s3, v25, s0
	s_mul_i32 s2, s8, 0x5b0
	v_add_co_u32 v24, s0, v24, v20
	v_add_co_ci_u32_e64 v25, s0, v25, v21, s0
	global_load_dwordx4 v[20:23], v[22:23], off offset:1136
	v_add_co_u32 v28, s0, v24, s2
	v_add_co_ci_u32_e64 v29, s0, s7, v25, s0
	v_add_co_u32 v32, s0, v28, s2
	v_add_co_ci_u32_e64 v33, s0, s7, v29, s0
	s_clause 0x1
	global_load_dwordx4 v[24:27], v[24:25], off
	global_load_dwordx4 v[28:31], v[28:29], off
	v_add_co_u32 v36, s0, v32, s2
	v_add_co_ci_u32_e64 v37, s0, s7, v33, s0
	global_load_dwordx4 v[32:35], v[32:33], off
	v_add_co_u32 v40, s0, v36, s2
	v_add_co_ci_u32_e64 v41, s0, s7, v37, s0
	;; [unrolled: 3-line block ×6, first 2 shown]
	s_clause 0x1
	global_load_dwordx4 v[52:55], v[56:57], off offset:544
	global_load_dwordx4 v[56:59], v[56:57], off offset:2000
	global_load_dwordx4 v[60:63], v[60:61], off
	global_load_dwordx4 v[64:67], v[64:65], off offset:1408
	global_load_dwordx4 v[68:71], v[68:69], off
	s_waitcnt vmcnt(11)
	v_mul_f64 v[72:73], v[26:27], v[2:3]
	v_mul_f64 v[2:3], v[24:25], v[2:3]
	s_waitcnt vmcnt(10)
	v_mul_f64 v[74:75], v[30:31], v[6:7]
	v_mul_f64 v[6:7], v[28:29], v[6:7]
	;; [unrolled: 3-line block ×6, first 2 shown]
	v_fma_f64 v[22:23], v[24:25], v[0:1], v[72:73]
	v_fma_f64 v[24:25], v[26:27], v[0:1], -v[2:3]
	v_fma_f64 v[0:1], v[28:29], v[4:5], v[74:75]
	v_fma_f64 v[2:3], v[30:31], v[4:5], -v[6:7]
	s_waitcnt vmcnt(4)
	v_mul_f64 v[86:87], v[50:51], v[54:55]
	v_mul_f64 v[54:55], v[48:49], v[54:55]
	s_waitcnt vmcnt(2)
	v_mul_f64 v[88:89], v[62:63], v[58:59]
	v_mul_f64 v[58:59], v[60:61], v[58:59]
	;; [unrolled: 3-line block ×3, first 2 shown]
	v_fma_f64 v[4:5], v[32:33], v[8:9], v[76:77]
	v_fma_f64 v[6:7], v[34:35], v[8:9], -v[10:11]
	v_fma_f64 v[8:9], v[36:37], v[12:13], v[78:79]
	v_fma_f64 v[10:11], v[38:39], v[12:13], -v[14:15]
	;; [unrolled: 2-line block ×7, first 2 shown]
	ds_write_b128 v209, v[22:25]
	ds_write_b128 v209, v[0:3] offset:1456
	ds_write_b128 v209, v[4:7] offset:2912
	;; [unrolled: 1-line block ×8, first 2 shown]
.LBB0_3:
	s_or_b32 exec_lo, exec_lo, s1
	s_clause 0x1
	s_load_dwordx2 s[0:1], s[4:5], 0x20
	s_load_dwordx2 s[2:3], s[4:5], 0x8
	s_waitcnt lgkmcnt(0)
	s_barrier
	buffer_gl0_inv
                                        ; implicit-def: $vgpr0_vgpr1
                                        ; implicit-def: $vgpr24_vgpr25
                                        ; implicit-def: $vgpr16_vgpr17
                                        ; implicit-def: $vgpr12_vgpr13
                                        ; implicit-def: $vgpr4_vgpr5
                                        ; implicit-def: $vgpr8_vgpr9
                                        ; implicit-def: $vgpr20_vgpr21
                                        ; implicit-def: $vgpr28_vgpr29
                                        ; implicit-def: $vgpr32_vgpr33
	s_and_saveexec_b32 s4, vcc_lo
	s_cbranch_execz .LBB0_5
; %bb.4:
	ds_read_b128 v[0:3], v209
	ds_read_b128 v[24:27], v209 offset:1456
	ds_read_b128 v[16:19], v209 offset:2912
	;; [unrolled: 1-line block ×8, first 2 shown]
.LBB0_5:
	s_or_b32 exec_lo, exec_lo, s4
	s_waitcnt lgkmcnt(0)
	v_add_f64 v[38:39], v[24:25], -v[32:33]
	v_add_f64 v[36:37], v[26:27], -v[34:35]
	v_add_f64 v[24:25], v[24:25], v[32:33]
	v_add_f64 v[26:27], v[26:27], v[34:35]
	v_add_f64 v[42:43], v[4:5], -v[8:9]
	v_add_f64 v[40:41], v[6:7], -v[10:11]
	v_add_f64 v[44:45], v[4:5], v[8:9]
	v_add_f64 v[46:47], v[6:7], v[10:11]
	s_mov_b32 s18, 0xa2cf5039
	s_mov_b32 s9, 0x3fe491b7
	;; [unrolled: 1-line block ×4, first 2 shown]
	v_add_f64 v[48:49], v[16:17], v[28:29]
	v_add_f64 v[54:55], v[18:19], v[30:31]
	v_add_f64 v[28:29], v[16:17], -v[28:29]
	v_add_f64 v[30:31], v[18:19], -v[30:31]
	s_mov_b32 s22, 0x8c811c17
	s_mov_b32 s20, 0x7e0b738b
	;; [unrolled: 1-line block ×4, first 2 shown]
	v_add_f64 v[50:51], v[12:13], v[20:21]
	v_add_f64 v[52:53], v[14:15], v[22:23]
	v_mul_f64 v[16:17], v[38:39], s[8:9]
	v_mul_f64 v[18:19], v[36:37], s[8:9]
	v_fma_f64 v[32:33], v[24:25], s[18:19], v[0:1]
	v_fma_f64 v[34:35], v[26:27], s[18:19], v[2:3]
	v_mul_f64 v[60:61], v[42:43], s[8:9]
	v_mul_f64 v[62:63], v[40:41], s[8:9]
	v_fma_f64 v[64:65], v[44:45], s[18:19], v[0:1]
	v_fma_f64 v[66:67], v[46:47], s[18:19], v[2:3]
	v_add_f64 v[56:57], v[12:13], -v[20:21]
	v_add_f64 v[58:59], v[14:15], -v[22:23]
	s_mov_b32 s4, 0xe8584cab
	s_mov_b32 s5, 0x3febb67a
	;; [unrolled: 1-line block ×8, first 2 shown]
	v_mul_lo_u16 v211, v210, 9
	s_barrier
	buffer_gl0_inv
	v_fma_f64 v[12:13], v[28:29], s[22:23], v[16:17]
	v_fma_f64 v[14:15], v[30:31], s[22:23], v[18:19]
	;; [unrolled: 1-line block ×4, first 2 shown]
	v_fma_f64 v[20:21], v[38:39], s[22:23], -v[60:61]
	v_fma_f64 v[22:23], v[36:37], s[22:23], -v[62:63]
	v_fma_f64 v[32:33], v[24:25], s[20:21], v[64:65]
	v_fma_f64 v[34:35], v[26:27], s[20:21], v[66:67]
	;; [unrolled: 1-line block ×4, first 2 shown]
	v_fma_f64 v[16:17], v[50:51], -0.5, v[16:17]
	v_fma_f64 v[18:19], v[52:53], -0.5, v[18:19]
	v_fma_f64 v[20:21], v[56:57], s[6:7], v[20:21]
	v_fma_f64 v[22:23], v[58:59], s[6:7], v[22:23]
	v_fma_f64 v[32:33], v[50:51], -0.5, v[32:33]
	v_fma_f64 v[34:35], v[52:53], -0.5, v[34:35]
	v_fma_f64 v[60:61], v[42:43], s[10:11], v[12:13]
	v_fma_f64 v[62:63], v[40:41], s[10:11], v[14:15]
	;; [unrolled: 1-line block ×8, first 2 shown]
	v_add_f64 v[16:17], v[62:63], v[12:13]
	v_add_f64 v[18:19], v[14:15], -v[60:61]
	v_add_f64 v[12:13], v[22:23], v[20:21]
	v_add_f64 v[14:15], v[32:33], -v[64:65]
	v_fma_f64 v[32:33], v[62:63], -2.0, v[16:17]
	v_fma_f64 v[34:35], v[60:61], 2.0, v[18:19]
	v_fma_f64 v[20:21], v[20:21], -2.0, v[12:13]
	v_fma_f64 v[22:23], v[64:65], 2.0, v[14:15]
	s_and_saveexec_b32 s24, vcc_lo
	s_cbranch_execz .LBB0_7
; %bb.6:
	v_mul_f64 v[60:61], v[42:43], s[22:23]
	v_fma_f64 v[62:63], v[54:55], s[18:19], v[2:3]
	v_mul_f64 v[64:65], v[40:41], s[22:23]
	v_fma_f64 v[66:67], v[48:49], s[18:19], v[0:1]
	v_add_f64 v[54:55], v[54:55], v[26:27]
	v_add_f64 v[48:49], v[48:49], v[24:25]
	s_mov_b32 s9, 0xbfe491b7
	v_mul_f64 v[56:57], v[56:57], s[4:5]
	v_mul_f64 v[58:59], v[58:59], s[4:5]
	v_mul_f64 v[68:69], v[50:51], 0.5
	v_mul_f64 v[70:71], v[52:53], 0.5
	v_add_f64 v[72:73], v[2:3], v[52:53]
	v_add_f64 v[74:75], v[0:1], v[50:51]
	;; [unrolled: 1-line block ×4, first 2 shown]
	v_fma_f64 v[60:61], v[28:29], s[8:9], -v[60:61]
	v_fma_f64 v[62:63], v[46:47], s[20:21], v[62:63]
	v_fma_f64 v[64:65], v[30:31], s[8:9], -v[64:65]
	v_fma_f64 v[66:67], v[44:45], s[20:21], v[66:67]
	v_add_f64 v[52:53], v[52:53], v[54:55]
	v_add_f64 v[50:51], v[50:51], v[48:49]
	v_add_f64 v[46:47], v[46:47], v[54:55]
	v_add_f64 v[44:45], v[44:45], v[48:49]
	v_add_f64 v[28:29], v[42:43], -v[28:29]
	v_add_f64 v[30:31], v[40:41], -v[30:31]
	v_add_f64 v[48:49], v[56:57], v[60:61]
	v_add_f64 v[54:55], v[62:63], -v[70:71]
	v_add_f64 v[56:57], v[58:59], v[64:65]
	;; [unrolled: 2-line block ×3, first 2 shown]
	v_add_f64 v[4:5], v[4:5], v[50:51]
	v_fma_f64 v[40:41], v[46:47], -0.5, v[72:73]
	v_fma_f64 v[42:43], v[44:45], -0.5, v[74:75]
	v_mul_f64 v[44:45], v[28:29], s[4:5]
	v_mul_f64 v[46:47], v[30:31], s[4:5]
	v_fma_f64 v[38:39], v[38:39], s[10:11], v[48:49]
	v_fma_f64 v[26:27], v[26:27], s[16:17], v[54:55]
	;; [unrolled: 1-line block ×4, first 2 shown]
	v_add_f64 v[48:49], v[10:11], v[6:7]
	v_add_f64 v[50:51], v[8:9], v[4:5]
	v_fma_f64 v[6:7], v[28:29], s[6:7], v[40:41]
	v_fma_f64 v[4:5], v[30:31], s[4:5], v[42:43]
	v_add_f64 v[10:11], v[26:27], -v[38:39]
	v_add_f64 v[8:9], v[36:37], v[24:25]
	v_add_f64 v[2:3], v[2:3], v[48:49]
	;; [unrolled: 1-line block ×3, first 2 shown]
	v_fma_f64 v[26:27], v[44:45], 2.0, v[6:7]
	v_fma_f64 v[24:25], v[46:47], -2.0, v[4:5]
	v_fma_f64 v[30:31], v[38:39], 2.0, v[10:11]
	v_fma_f64 v[28:29], v[36:37], -2.0, v[8:9]
	v_mov_b32_e32 v36, 4
	v_lshlrev_b32_sdwa v36, v36, v211 dst_sel:DWORD dst_unused:UNUSED_PAD src0_sel:DWORD src1_sel:WORD_0
	ds_write_b128 v36, v[16:19] offset:16
	ds_write_b128 v36, v[12:15] offset:32
	;; [unrolled: 1-line block ×4, first 2 shown]
	ds_write_b128 v36, v[0:3]
	ds_write_b128 v36, v[8:11] offset:64
	ds_write_b128 v36, v[24:27] offset:96
	;; [unrolled: 1-line block ×4, first 2 shown]
.LBB0_7:
	s_or_b32 exec_lo, exec_lo, s24
	v_and_b32_e32 v0, 0xff, v210
	s_load_dwordx4 s[4:7], s[0:1], 0x0
	s_waitcnt lgkmcnt(0)
	s_barrier
	buffer_gl0_inv
	v_mul_lo_u16 v0, v0, 57
	s_mov_b32 s0, 0x37e14327
	s_mov_b32 s1, 0x3fe948f6
	;; [unrolled: 1-line block ×4, first 2 shown]
	v_lshrrev_b16 v84, 9, v0
	s_mov_b32 s9, 0x3fac98ee
	s_mov_b32 s11, 0xbfe11646
	;; [unrolled: 1-line block ×4, first 2 shown]
	v_mul_lo_u16 v0, v84, 9
	s_mov_b32 s19, 0x3fd5d0dc
	s_mov_b32 s18, 0xb247c609
                                        ; implicit-def: $vgpr88_vgpr89
	v_sub_nc_u16 v0, v210, v0
	v_and_b32_e32 v85, 0xff, v0
	v_mul_u32_u24_e32 v0, 6, v85
	v_lshlrev_b32_e32 v0, 4, v0
	s_clause 0x5
	global_load_dwordx4 v[44:47], v0, s[2:3]
	global_load_dwordx4 v[40:43], v0, s[2:3] offset:16
	global_load_dwordx4 v[52:55], v0, s[2:3] offset:80
	;; [unrolled: 1-line block ×5, first 2 shown]
	ds_read_b128 v[0:3], v209 offset:1872
	ds_read_b128 v[4:7], v209 offset:3744
	;; [unrolled: 1-line block ×6, first 2 shown]
	s_waitcnt vmcnt(5) lgkmcnt(5)
	v_mul_f64 v[28:29], v[2:3], v[46:47]
	v_mul_f64 v[30:31], v[0:1], v[46:47]
	s_waitcnt vmcnt(4) lgkmcnt(4)
	v_mul_f64 v[36:37], v[6:7], v[42:43]
	v_mul_f64 v[38:39], v[4:5], v[42:43]
	;; [unrolled: 3-line block ×6, first 2 shown]
	v_fma_f64 v[0:1], v[0:1], v[44:45], -v[28:29]
	v_fma_f64 v[2:3], v[2:3], v[44:45], v[30:31]
	v_fma_f64 v[4:5], v[4:5], v[40:41], -v[36:37]
	v_fma_f64 v[6:7], v[6:7], v[40:41], v[38:39]
	v_fma_f64 v[8:9], v[8:9], v[52:53], -v[48:49]
	v_fma_f64 v[10:11], v[10:11], v[52:53], v[50:51]
	v_fma_f64 v[12:13], v[12:13], v[64:65], -v[68:69]
	v_fma_f64 v[14:15], v[14:15], v[64:65], v[70:71]
	v_fma_f64 v[16:17], v[16:17], v[60:61], -v[72:73]
	v_fma_f64 v[18:19], v[18:19], v[60:61], v[74:75]
	v_fma_f64 v[24:25], v[24:25], v[56:57], -v[76:77]
	v_fma_f64 v[26:27], v[26:27], v[56:57], v[78:79]
	v_add_f64 v[28:29], v[0:1], v[8:9]
	v_add_f64 v[30:31], v[2:3], v[10:11]
	;; [unrolled: 1-line block ×4, first 2 shown]
	v_add_f64 v[4:5], v[4:5], -v[12:13]
	v_add_f64 v[6:7], v[6:7], -v[14:15]
	v_add_f64 v[48:49], v[16:17], v[24:25]
	v_add_f64 v[50:51], v[18:19], v[26:27]
	v_add_f64 v[12:13], v[24:25], -v[16:17]
	v_add_f64 v[14:15], v[26:27], -v[18:19]
	;; [unrolled: 1-line block ×4, first 2 shown]
	ds_read_b128 v[0:3], v209
	s_waitcnt lgkmcnt(0)
	s_barrier
	buffer_gl0_inv
	v_add_f64 v[16:17], v[36:37], v[28:29]
	v_add_f64 v[18:19], v[38:39], v[30:31]
	v_add_f64 v[24:25], v[28:29], -v[48:49]
	v_add_f64 v[26:27], v[30:31], -v[50:51]
	;; [unrolled: 1-line block ×10, first 2 shown]
	v_add_f64 v[4:5], v[12:13], v[4:5]
	v_add_f64 v[6:7], v[14:15], v[6:7]
	v_add_f64 v[12:13], v[8:9], -v[12:13]
	v_add_f64 v[14:15], v[10:11], -v[14:15]
	v_add_f64 v[16:17], v[48:49], v[16:17]
	v_add_f64 v[18:19], v[50:51], v[18:19]
	v_mul_f64 v[24:25], v[24:25], s[0:1]
	v_mul_f64 v[26:27], v[26:27], s[0:1]
	s_mov_b32 s0, 0x429ad128
	v_mul_f64 v[36:37], v[68:69], s[8:9]
	v_mul_f64 v[38:39], v[70:71], s[8:9]
	;; [unrolled: 1-line block ×4, first 2 shown]
	s_mov_b32 s1, 0x3febfeb5
	s_mov_b32 s10, 0xaaaaaaaa
	v_mul_f64 v[80:81], v[76:77], s[0:1]
	v_mul_f64 v[82:83], v[78:79], s[0:1]
	s_mov_b32 s11, 0xbff2aaaa
	v_add_f64 v[72:73], v[0:1], v[16:17]
	v_add_f64 v[74:75], v[2:3], v[18:19]
	;; [unrolled: 1-line block ×4, first 2 shown]
	v_fma_f64 v[4:5], v[68:69], s[8:9], v[24:25]
	v_fma_f64 v[6:7], v[70:71], s[8:9], v[26:27]
	v_fma_f64 v[8:9], v[28:29], s[16:17], -v[36:37]
	v_fma_f64 v[10:11], v[30:31], s[16:17], -v[38:39]
	s_mov_b32 s17, 0xbfe77f67
	v_fma_f64 v[36:37], v[12:13], s[18:19], v[48:49]
	v_fma_f64 v[38:39], v[14:15], s[18:19], v[50:51]
	s_mov_b32 s19, 0xbfd5d0dc
	v_fma_f64 v[48:49], v[76:77], s[0:1], -v[48:49]
	v_fma_f64 v[50:51], v[78:79], s[0:1], -v[50:51]
	;; [unrolled: 1-line block ×6, first 2 shown]
	s_mov_b32 s0, 0x37c3f68c
	s_mov_b32 s1, 0x3fdc38aa
                                        ; implicit-def: $vgpr76_vgpr77
                                        ; implicit-def: $vgpr80_vgpr81
	v_fma_f64 v[16:17], v[16:17], s[10:11], v[72:73]
	v_fma_f64 v[18:19], v[18:19], s[10:11], v[74:75]
	;; [unrolled: 1-line block ×8, first 2 shown]
	v_cmp_gt_u16_e64 s0, 63, v210
	v_add_f64 v[68:69], v[4:5], v[16:17]
	v_add_f64 v[70:71], v[6:7], v[18:19]
	v_add_f64 v[24:25], v[24:25], v[16:17]
	v_add_f64 v[26:27], v[26:27], v[18:19]
	v_add_f64 v[16:17], v[8:9], v[16:17]
	v_add_f64 v[18:19], v[10:11], v[18:19]
	v_add_f64 v[0:1], v[30:31], v[68:69]
	v_add_f64 v[2:3], v[70:71], -v[28:29]
	v_add_f64 v[4:5], v[14:15], v[24:25]
	v_add_f64 v[6:7], v[26:27], -v[12:13]
	v_add_f64 v[8:9], v[16:17], -v[38:39]
	v_add_f64 v[10:11], v[36:37], v[18:19]
	v_add_f64 v[16:17], v[38:39], v[16:17]
	v_add_f64 v[18:19], v[18:19], -v[36:37]
	v_add_f64 v[48:49], v[24:25], -v[14:15]
	v_add_f64 v[50:51], v[12:13], v[26:27]
	v_add_f64 v[68:69], v[68:69], -v[30:31]
	v_add_f64 v[70:71], v[28:29], v[70:71]
	v_mov_b32_e32 v12, 63
	v_mul_u32_u24_sdwa v12, v84, v12 dst_sel:DWORD dst_unused:UNUSED_PAD src0_sel:WORD_0 src1_sel:DWORD
	v_add_lshl_u32 v212, v12, v85, 4
	ds_write_b128 v212, v[72:75]
	ds_write_b128 v212, v[0:3] offset:144
	ds_write_b128 v212, v[4:7] offset:288
	;; [unrolled: 1-line block ×6, first 2 shown]
	s_waitcnt lgkmcnt(0)
	s_barrier
	buffer_gl0_inv
                                        ; implicit-def: $vgpr84_vgpr85
	s_and_saveexec_b32 s1, s0
	s_cbranch_execz .LBB0_9
; %bb.8:
	ds_read_b128 v[72:75], v209
	ds_read_b128 v[0:3], v209 offset:1008
	ds_read_b128 v[4:7], v209 offset:2016
	;; [unrolled: 1-line block ×12, first 2 shown]
.LBB0_9:
	s_or_b32 exec_lo, exec_lo, s1
	v_subrev_nc_u32_e32 v12, 63, v210
	s_mov_b32 s26, 0x42a4c3d2
	s_mov_b32 s30, 0x66966769
	;; [unrolled: 1-line block ×4, first 2 shown]
	v_cndmask_b32_e64 v12, v12, v210, s0
	s_mov_b32 s34, 0x4bc48dbf
	s_mov_b32 s21, 0xbfddbe06
	s_mov_b32 s20, 0x4267c47c
	s_mov_b32 s27, 0xbfea55e2
	v_mul_i32_i24_e32 v13, 0xc0, v12
	v_mul_hi_i32_i24_e32 v12, 0xc0, v12
	s_mov_b32 s31, 0xbfefc445
	s_mov_b32 s23, 0xbfedeba7
	;; [unrolled: 1-line block ×3, first 2 shown]
	v_add_co_u32 v92, s1, s2, v13
	v_add_co_ci_u32_e64 v93, s1, s3, v12, s1
	s_mov_b32 s35, 0xbfcea1e5
	s_mov_b32 s8, 0xe00740e9
	;; [unrolled: 1-line block ×3, first 2 shown]
	s_clause 0x1
	global_load_dwordx4 v[36:39], v[92:93], off offset:864
	global_load_dwordx4 v[28:31], v[92:93], off offset:880
	s_mov_b32 s2, 0xebaa3ed8
	s_mov_b32 s16, 0xb2365da1
	;; [unrolled: 1-line block ×16, first 2 shown]
	s_waitcnt vmcnt(1) lgkmcnt(11)
	v_mul_f64 v[12:13], v[2:3], v[38:39]
	v_fma_f64 v[94:95], v[0:1], v[36:37], -v[12:13]
	s_clause 0x1
	global_load_dwordx4 v[24:27], v[92:93], off offset:896
	global_load_dwordx4 v[12:15], v[92:93], off offset:912
	v_mul_f64 v[0:1], v[0:1], v[38:39]
	v_add_f64 v[169:170], v[72:73], v[94:95]
	v_fma_f64 v[96:97], v[2:3], v[36:37], v[0:1]
	s_waitcnt vmcnt(2) lgkmcnt(10)
	v_mul_f64 v[0:1], v[6:7], v[30:31]
	v_add_f64 v[171:172], v[74:75], v[96:97]
	v_fma_f64 v[108:109], v[4:5], v[28:29], -v[0:1]
	v_mul_f64 v[0:1], v[4:5], v[30:31]
	v_fma_f64 v[110:111], v[6:7], v[28:29], v[0:1]
	s_waitcnt vmcnt(1) lgkmcnt(9)
	v_mul_f64 v[0:1], v[10:11], v[26:27]
	v_fma_f64 v[120:121], v[8:9], v[24:25], -v[0:1]
	v_mul_f64 v[0:1], v[8:9], v[26:27]
	v_fma_f64 v[122:123], v[10:11], v[24:25], v[0:1]
	s_waitcnt vmcnt(0) lgkmcnt(8)
	v_mul_f64 v[0:1], v[18:19], v[14:15]
	v_fma_f64 v[125:126], v[16:17], v[12:13], -v[0:1]
	v_mul_f64 v[0:1], v[16:17], v[14:15]
	v_fma_f64 v[127:128], v[18:19], v[12:13], v[0:1]
	s_clause 0x1
	global_load_dwordx4 v[8:11], v[92:93], off offset:928
	global_load_dwordx4 v[0:3], v[92:93], off offset:944
	s_waitcnt vmcnt(1) lgkmcnt(7)
	v_mul_f64 v[4:5], v[50:51], v[10:11]
	v_fma_f64 v[129:130], v[48:49], v[8:9], -v[4:5]
	v_mul_f64 v[4:5], v[48:49], v[10:11]
	v_fma_f64 v[131:132], v[50:51], v[8:9], v[4:5]
	s_waitcnt vmcnt(0) lgkmcnt(6)
	v_mul_f64 v[4:5], v[70:71], v[2:3]
	v_fma_f64 v[133:134], v[68:69], v[0:1], -v[4:5]
	v_mul_f64 v[4:5], v[68:69], v[2:3]
	v_fma_f64 v[135:136], v[70:71], v[0:1], v[4:5]
	s_clause 0x1
	global_load_dwordx4 v[4:7], v[92:93], off offset:960
	global_load_dwordx4 v[16:19], v[92:93], off offset:976
	s_waitcnt vmcnt(1) lgkmcnt(5)
	v_mul_f64 v[48:49], v[22:23], v[6:7]
	v_fma_f64 v[137:138], v[20:21], v[4:5], -v[48:49]
	v_mul_f64 v[20:21], v[20:21], v[6:7]
	v_fma_f64 v[139:140], v[22:23], v[4:5], v[20:21]
	s_waitcnt vmcnt(0) lgkmcnt(4)
	v_mul_f64 v[20:21], v[34:35], v[18:19]
	v_fma_f64 v[141:142], v[32:33], v[16:17], -v[20:21]
	v_mul_f64 v[20:21], v[32:33], v[18:19]
	v_add_f64 v[185:186], v[129:130], v[141:142]
	v_fma_f64 v[143:144], v[34:35], v[16:17], v[20:21]
	s_clause 0x1
	global_load_dwordx4 v[20:23], v[92:93], off offset:992
	global_load_dwordx4 v[32:35], v[92:93], off offset:1008
	v_add_f64 v[207:208], v[129:130], -v[141:142]
	v_add_f64 v[205:206], v[131:132], -v[143:144]
	v_add_f64 v[187:188], v[131:132], v[143:144]
	v_mul_f64 v[229:230], v[207:208], s[24:25]
	v_mul_f64 v[227:228], v[205:206], s[24:25]
	s_waitcnt vmcnt(1) lgkmcnt(3)
	v_mul_f64 v[48:49], v[86:87], v[22:23]
	v_fma_f64 v[145:146], v[84:85], v[20:21], -v[48:49]
	v_mul_f64 v[48:49], v[84:85], v[22:23]
	v_add_f64 v[181:182], v[125:126], v[145:146]
	v_fma_f64 v[147:148], v[86:87], v[20:21], v[48:49]
	s_waitcnt vmcnt(0) lgkmcnt(2)
	v_mul_f64 v[48:49], v[90:91], v[34:35]
	v_add_f64 v[203:204], v[125:126], -v[145:146]
	v_add_f64 v[201:202], v[127:128], -v[147:148]
	v_fma_f64 v[149:150], v[88:89], v[32:33], -v[48:49]
	v_mul_f64 v[48:49], v[88:89], v[34:35]
	v_add_f64 v[183:184], v[127:128], v[147:148]
	v_mul_f64 v[225:226], v[203:204], s[22:23]
	v_mul_f64 v[223:224], v[201:202], s[22:23]
	v_add_f64 v[199:200], v[120:121], -v[149:150]
	v_fma_f64 v[151:152], v[90:91], v[32:33], v[48:49]
	s_clause 0x1
	global_load_dwordx4 v[48:51], v[92:93], off offset:1024
	global_load_dwordx4 v[68:71], v[92:93], off offset:1040
	v_mul_f64 v[221:222], v[199:200], s[30:31]
	v_add_f64 v[197:198], v[122:123], -v[151:152]
	v_add_f64 v[179:180], v[122:123], v[151:152]
	s_waitcnt vmcnt(1) lgkmcnt(1)
	v_mul_f64 v[84:85], v[78:79], v[50:51]
	v_fma_f64 v[153:154], v[76:77], v[48:49], -v[84:85]
	v_mul_f64 v[76:77], v[76:77], v[50:51]
	v_add_f64 v[195:196], v[108:109], -v[153:154]
	v_fma_f64 v[155:156], v[78:79], v[48:49], v[76:77]
	s_waitcnt vmcnt(0) lgkmcnt(0)
	v_mul_f64 v[76:77], v[82:83], v[70:71]
	v_mul_f64 v[219:220], v[195:196], s[26:27]
	v_add_f64 v[193:194], v[110:111], -v[155:156]
	v_fma_f64 v[157:158], v[80:81], v[68:69], -v[76:77]
	v_mul_f64 v[76:77], v[80:81], v[70:71]
	v_add_f64 v[88:89], v[94:95], v[157:158]
	v_fma_f64 v[159:160], v[82:83], v[68:69], v[76:77]
	v_add_f64 v[76:77], v[96:97], -v[159:160]
	v_add_f64 v[161:162], v[96:97], v[159:160]
	v_mul_f64 v[78:79], v[76:77], s[20:21]
	v_mul_f64 v[80:81], v[76:77], s[26:27]
	;; [unrolled: 1-line block ×6, first 2 shown]
	v_fma_f64 v[90:91], v[88:89], s[8:9], -v[78:79]
	v_fma_f64 v[78:79], v[88:89], s[8:9], v[78:79]
	v_fma_f64 v[92:93], v[88:89], s[10:11], -v[80:81]
	v_fma_f64 v[80:81], v[88:89], s[10:11], v[80:81]
	;; [unrolled: 2-line block ×6, first 2 shown]
	v_add_f64 v[76:77], v[94:95], -v[157:158]
	v_add_f64 v[90:91], v[72:73], v[90:91]
	v_add_f64 v[213:214], v[72:73], v[78:79]
	;; [unrolled: 1-line block ×7, first 2 shown]
	v_add_f64 v[116:117], v[135:136], -v[139:140]
	v_mul_f64 v[106:107], v[76:77], s[30:31]
	v_mul_f64 v[118:119], v[76:77], s[24:25]
	;; [unrolled: 1-line block ×6, first 2 shown]
	s_mov_b32 s21, 0x3fddbe06
	v_mul_f64 v[231:232], v[116:117], s[34:35]
	v_fma_f64 v[167:168], v[161:162], s[2:3], v[106:107]
	v_fma_f64 v[106:107], v[161:162], s[2:3], -v[106:107]
	v_fma_f64 v[175:176], v[161:162], s[18:19], v[118:119]
	v_fma_f64 v[163:164], v[161:162], s[8:9], v[82:83]
	v_fma_f64 v[82:83], v[161:162], s[8:9], -v[82:83]
	v_fma_f64 v[165:166], v[161:162], s[10:11], v[86:87]
	v_fma_f64 v[86:87], v[161:162], s[10:11], -v[86:87]
	;; [unrolled: 2-line block ×3, first 2 shown]
	v_fma_f64 v[118:119], v[161:162], s[18:19], -v[118:119]
	v_fma_f64 v[177:178], v[161:162], s[28:29], v[76:77]
	v_fma_f64 v[161:162], v[161:162], s[28:29], -v[76:77]
	v_add_f64 v[96:97], v[74:75], v[167:168]
	v_add_f64 v[76:77], v[74:75], v[106:107]
	;; [unrolled: 1-line block ×16, first 2 shown]
	v_mul_f64 v[72:73], v[193:194], s[26:27]
	v_add_f64 v[112:113], v[74:75], v[118:119]
	v_add_f64 v[189:190], v[74:75], v[177:178]
	;; [unrolled: 1-line block ×5, first 2 shown]
	v_add_f64 v[118:119], v[133:134], -v[137:138]
	v_add_f64 v[161:162], v[135:136], v[139:140]
	v_add_f64 v[108:109], v[169:170], v[108:109]
	;; [unrolled: 1-line block ×3, first 2 shown]
	v_fma_f64 v[88:89], v[175:176], s[10:11], v[219:220]
	v_fma_f64 v[74:75], v[173:174], s[10:11], -v[72:73]
	v_fma_f64 v[72:73], v[173:174], s[10:11], v[72:73]
	v_add_f64 v[108:109], v[108:109], v[120:121]
	v_add_f64 v[110:111], v[110:111], v[122:123]
	;; [unrolled: 1-line block ×3, first 2 shown]
	v_mul_f64 v[94:95], v[197:198], s[30:31]
	v_add_f64 v[74:75], v[74:75], v[90:91]
	v_add_f64 v[72:73], v[72:73], v[213:214]
	v_fma_f64 v[213:214], v[175:176], s[10:11], -v[219:220]
	v_add_f64 v[108:109], v[108:109], v[125:126]
	v_add_f64 v[110:111], v[110:111], v[127:128]
	v_fma_f64 v[90:91], v[177:178], s[2:3], -v[94:95]
	v_fma_f64 v[94:95], v[177:178], s[2:3], v[94:95]
	v_add_f64 v[213:214], v[213:214], v[215:216]
	v_mul_f64 v[215:216], v[195:196], s[22:23]
	v_add_f64 v[108:109], v[108:109], v[129:130]
	v_add_f64 v[110:111], v[110:111], v[131:132]
	v_add_f64 v[74:75], v[90:91], v[74:75]
	v_fma_f64 v[90:91], v[179:180], s[2:3], v[221:222]
	v_add_f64 v[72:73], v[94:95], v[72:73]
	v_fma_f64 v[94:95], v[179:180], s[2:3], -v[221:222]
	v_add_f64 v[108:109], v[108:109], v[133:134]
	v_add_f64 v[110:111], v[110:111], v[135:136]
	v_add_f64 v[88:89], v[90:91], v[88:89]
	v_fma_f64 v[90:91], v[181:182], s[16:17], -v[223:224]
	v_add_f64 v[94:95], v[94:95], v[213:214]
	v_fma_f64 v[213:214], v[181:182], s[16:17], v[223:224]
	v_add_f64 v[108:109], v[108:109], v[137:138]
	v_add_f64 v[110:111], v[110:111], v[139:140]
	v_add_f64 v[74:75], v[90:91], v[74:75]
	v_fma_f64 v[90:91], v[183:184], s[16:17], v[225:226]
	v_add_f64 v[72:73], v[213:214], v[72:73]
	v_fma_f64 v[213:214], v[183:184], s[16:17], -v[225:226]
	v_add_f64 v[108:109], v[108:109], v[141:142]
	v_add_f64 v[110:111], v[110:111], v[143:144]
	v_add_f64 v[88:89], v[90:91], v[88:89]
	v_fma_f64 v[90:91], v[185:186], s[18:19], -v[227:228]
	v_add_f64 v[94:95], v[213:214], v[94:95]
	v_fma_f64 v[213:214], v[185:186], s[18:19], v[227:228]
	;; [unrolled: 12-line block ×3, first 2 shown]
	v_add_f64 v[108:109], v[108:109], v[153:154]
	v_add_f64 v[110:111], v[110:111], v[155:156]
	;; [unrolled: 1-line block ×3, first 2 shown]
	v_mul_f64 v[74:75], v[118:119], s[34:35]
	v_add_f64 v[72:73], v[213:214], v[72:73]
	v_mul_f64 v[213:214], v[193:194], s[22:23]
	v_add_f64 v[108:109], v[108:109], v[157:158]
	v_add_f64 v[110:111], v[110:111], v[159:160]
	v_fma_f64 v[233:234], v[161:162], s[28:29], v[74:75]
	v_fma_f64 v[74:75], v[161:162], s[28:29], -v[74:75]
	v_add_f64 v[90:91], v[233:234], v[90:91]
	v_add_f64 v[74:75], v[74:75], v[94:95]
	v_fma_f64 v[94:95], v[173:174], s[16:17], -v[213:214]
	v_fma_f64 v[213:214], v[173:174], s[16:17], v[213:214]
	v_add_f64 v[92:93], v[94:95], v[92:93]
	v_fma_f64 v[94:95], v[175:176], s[16:17], v[215:216]
	v_add_f64 v[82:83], v[213:214], v[82:83]
	v_fma_f64 v[213:214], v[175:176], s[16:17], -v[215:216]
	v_add_f64 v[94:95], v[94:95], v[217:218]
	v_mul_f64 v[217:218], v[197:198], s[34:35]
	v_add_f64 v[80:81], v[213:214], v[80:81]
	v_fma_f64 v[219:220], v[177:178], s[28:29], -v[217:218]
	v_fma_f64 v[213:214], v[177:178], s[28:29], v[217:218]
	v_add_f64 v[92:93], v[219:220], v[92:93]
	v_mul_f64 v[219:220], v[199:200], s[34:35]
	v_add_f64 v[82:83], v[213:214], v[82:83]
	v_fma_f64 v[221:222], v[179:180], s[28:29], v[219:220]
	v_fma_f64 v[213:214], v[179:180], s[28:29], -v[219:220]
	v_add_f64 v[94:95], v[221:222], v[94:95]
	v_mul_f64 v[221:222], v[201:202], s[36:37]
	v_add_f64 v[80:81], v[213:214], v[80:81]
	v_fma_f64 v[223:224], v[181:182], s[18:19], -v[221:222]
	v_fma_f64 v[213:214], v[181:182], s[18:19], v[221:222]
	v_add_f64 v[92:93], v[223:224], v[92:93]
	v_mul_f64 v[223:224], v[203:204], s[36:37]
	v_add_f64 v[82:83], v[213:214], v[82:83]
	v_fma_f64 v[225:226], v[183:184], s[18:19], v[223:224]
	;; [unrolled: 10-line block ×3, first 2 shown]
	v_fma_f64 v[213:214], v[187:188], s[2:3], -v[227:228]
	v_add_f64 v[94:95], v[229:230], v[94:95]
	v_mul_f64 v[229:230], v[116:117], s[20:21]
	v_add_f64 v[213:214], v[213:214], v[80:81]
	v_fma_f64 v[231:232], v[163:164], s[8:9], -v[229:230]
	v_fma_f64 v[80:81], v[163:164], s[8:9], v[229:230]
	v_add_f64 v[92:93], v[231:232], v[92:93]
	v_mul_f64 v[231:232], v[118:119], s[20:21]
	v_add_f64 v[80:81], v[80:81], v[82:83]
	v_fma_f64 v[215:216], v[161:162], s[8:9], -v[231:232]
	v_fma_f64 v[233:234], v[161:162], s[8:9], v[231:232]
	v_mul_f64 v[231:232], v[116:117], s[24:25]
	v_add_f64 v[82:83], v[215:216], v[213:214]
	v_mul_f64 v[213:214], v[193:194], s[34:35]
	v_add_f64 v[94:95], v[233:234], v[94:95]
	v_mul_f64 v[233:234], v[118:119], s[24:25]
	v_fma_f64 v[215:216], v[173:174], s[28:29], -v[213:214]
	v_fma_f64 v[213:214], v[173:174], s[28:29], v[213:214]
	v_add_f64 v[98:99], v[215:216], v[98:99]
	v_mul_f64 v[215:216], v[195:196], s[34:35]
	v_add_f64 v[78:79], v[213:214], v[78:79]
	s_mov_b32 s35, 0x3fcea1e5
	v_fma_f64 v[217:218], v[175:176], s[28:29], v[215:216]
	v_fma_f64 v[213:214], v[175:176], s[28:29], -v[215:216]
	v_fma_f64 v[215:216], v[161:162], s[18:19], -v[233:234]
	v_add_f64 v[96:97], v[217:218], v[96:97]
	v_mul_f64 v[217:218], v[197:198], s[40:41]
	v_add_f64 v[76:77], v[213:214], v[76:77]
	v_fma_f64 v[219:220], v[177:178], s[16:17], -v[217:218]
	v_fma_f64 v[213:214], v[177:178], s[16:17], v[217:218]
	v_add_f64 v[98:99], v[219:220], v[98:99]
	v_mul_f64 v[219:220], v[199:200], s[40:41]
	v_add_f64 v[78:79], v[213:214], v[78:79]
	v_fma_f64 v[221:222], v[179:180], s[16:17], v[219:220]
	v_fma_f64 v[213:214], v[179:180], s[16:17], -v[219:220]
	v_add_f64 v[96:97], v[221:222], v[96:97]
	v_mul_f64 v[221:222], v[201:202], s[20:21]
	v_add_f64 v[76:77], v[213:214], v[76:77]
	v_fma_f64 v[223:224], v[181:182], s[8:9], -v[221:222]
	v_fma_f64 v[213:214], v[181:182], s[8:9], v[221:222]
	v_add_f64 v[98:99], v[223:224], v[98:99]
	v_mul_f64 v[223:224], v[203:204], s[20:21]
	v_add_f64 v[78:79], v[213:214], v[78:79]
	v_fma_f64 v[225:226], v[183:184], s[8:9], v[223:224]
	v_fma_f64 v[213:214], v[183:184], s[8:9], -v[223:224]
	v_add_f64 v[96:97], v[225:226], v[96:97]
	v_mul_f64 v[225:226], v[205:206], s[26:27]
	v_add_f64 v[76:77], v[213:214], v[76:77]
	v_fma_f64 v[227:228], v[185:186], s[10:11], -v[225:226]
	v_fma_f64 v[213:214], v[185:186], s[10:11], v[225:226]
	v_add_f64 v[98:99], v[227:228], v[98:99]
	v_mul_f64 v[227:228], v[207:208], s[26:27]
	v_add_f64 v[78:79], v[213:214], v[78:79]
	v_fma_f64 v[213:214], v[187:188], s[10:11], -v[227:228]
	v_fma_f64 v[229:230], v[187:188], s[10:11], v[227:228]
	v_add_f64 v[213:214], v[213:214], v[76:77]
	v_fma_f64 v[76:77], v[163:164], s[18:19], v[231:232]
	v_add_f64 v[229:230], v[229:230], v[96:97]
	v_fma_f64 v[96:97], v[163:164], s[18:19], -v[231:232]
	v_add_f64 v[76:77], v[76:77], v[78:79]
	v_add_f64 v[78:79], v[215:216], v[213:214]
	v_mul_f64 v[213:214], v[193:194], s[36:37]
	v_add_f64 v[96:97], v[96:97], v[98:99]
	v_fma_f64 v[98:99], v[161:162], s[18:19], v[233:234]
	v_fma_f64 v[215:216], v[173:174], s[18:19], -v[213:214]
	v_fma_f64 v[213:214], v[173:174], s[18:19], v[213:214]
	v_add_f64 v[98:99], v[98:99], v[229:230]
	v_add_f64 v[102:103], v[215:216], v[102:103]
	v_mul_f64 v[215:216], v[195:196], s[36:37]
	v_add_f64 v[86:87], v[213:214], v[86:87]
	v_fma_f64 v[217:218], v[175:176], s[18:19], v[215:216]
	v_fma_f64 v[213:214], v[175:176], s[18:19], -v[215:216]
	v_add_f64 v[100:101], v[217:218], v[100:101]
	v_mul_f64 v[217:218], v[197:198], s[20:21]
	v_add_f64 v[84:85], v[213:214], v[84:85]
	v_fma_f64 v[219:220], v[177:178], s[8:9], -v[217:218]
	v_fma_f64 v[213:214], v[177:178], s[8:9], v[217:218]
	v_add_f64 v[102:103], v[219:220], v[102:103]
	v_mul_f64 v[219:220], v[199:200], s[20:21]
	v_add_f64 v[86:87], v[213:214], v[86:87]
	v_fma_f64 v[221:222], v[179:180], s[8:9], v[219:220]
	v_fma_f64 v[213:214], v[179:180], s[8:9], -v[219:220]
	v_add_f64 v[100:101], v[221:222], v[100:101]
	v_mul_f64 v[221:222], v[201:202], s[30:31]
	v_add_f64 v[84:85], v[213:214], v[84:85]
	v_fma_f64 v[223:224], v[181:182], s[2:3], -v[221:222]
	v_fma_f64 v[213:214], v[181:182], s[2:3], v[221:222]
	v_add_f64 v[102:103], v[223:224], v[102:103]
	v_mul_f64 v[223:224], v[203:204], s[30:31]
	v_add_f64 v[86:87], v[213:214], v[86:87]
	s_mov_b32 s31, 0x3fea55e2
	s_mov_b32 s30, s26
	v_mul_f64 v[231:232], v[116:117], s[30:31]
	v_mul_f64 v[233:234], v[118:119], s[30:31]
	v_fma_f64 v[225:226], v[183:184], s[2:3], v[223:224]
	v_fma_f64 v[213:214], v[183:184], s[2:3], -v[223:224]
	v_fma_f64 v[215:216], v[161:162], s[10:11], -v[233:234]
	v_add_f64 v[100:101], v[225:226], v[100:101]
	v_mul_f64 v[225:226], v[205:206], s[34:35]
	v_add_f64 v[84:85], v[213:214], v[84:85]
	v_fma_f64 v[227:228], v[185:186], s[28:29], -v[225:226]
	v_fma_f64 v[213:214], v[185:186], s[28:29], v[225:226]
	v_add_f64 v[102:103], v[227:228], v[102:103]
	v_mul_f64 v[227:228], v[207:208], s[34:35]
	v_add_f64 v[86:87], v[213:214], v[86:87]
	v_fma_f64 v[213:214], v[187:188], s[28:29], -v[227:228]
	v_fma_f64 v[229:230], v[187:188], s[28:29], v[227:228]
	v_add_f64 v[213:214], v[213:214], v[84:85]
	v_fma_f64 v[84:85], v[163:164], s[10:11], v[231:232]
	v_add_f64 v[229:230], v[229:230], v[100:101]
	v_fma_f64 v[100:101], v[163:164], s[10:11], -v[231:232]
	v_mul_f64 v[231:232], v[116:117], s[22:23]
	v_add_f64 v[84:85], v[84:85], v[86:87]
	v_add_f64 v[86:87], v[215:216], v[213:214]
	v_mul_f64 v[213:214], v[193:194], s[38:39]
	v_add_f64 v[100:101], v[100:101], v[102:103]
	v_fma_f64 v[102:103], v[161:162], s[10:11], v[233:234]
	v_mul_f64 v[233:234], v[118:119], s[22:23]
	v_mul_f64 v[193:194], v[193:194], s[20:21]
	v_fma_f64 v[215:216], v[173:174], s[2:3], -v[213:214]
	v_fma_f64 v[213:214], v[173:174], s[2:3], v[213:214]
	v_add_f64 v[102:103], v[102:103], v[229:230]
	v_fma_f64 v[120:121], v[173:174], s[8:9], v[193:194]
	v_add_f64 v[106:107], v[215:216], v[106:107]
	v_mul_f64 v[215:216], v[195:196], s[38:39]
	v_add_f64 v[114:115], v[213:214], v[114:115]
	v_mul_f64 v[195:196], v[195:196], s[20:21]
	v_add_f64 v[120:121], v[120:121], v[165:166]
	v_fma_f64 v[217:218], v[175:176], s[2:3], v[215:216]
	v_fma_f64 v[213:214], v[175:176], s[2:3], -v[215:216]
	v_fma_f64 v[215:216], v[161:162], s[16:17], -v[233:234]
	;; [unrolled: 1-line block ×3, first 2 shown]
	v_add_f64 v[104:105], v[217:218], v[104:105]
	v_mul_f64 v[217:218], v[197:198], s[26:27]
	v_add_f64 v[112:113], v[213:214], v[112:113]
	v_mul_f64 v[197:198], v[197:198], s[24:25]
	v_add_f64 v[122:123], v[122:123], v[167:168]
	v_fma_f64 v[219:220], v[177:178], s[10:11], -v[217:218]
	v_fma_f64 v[213:214], v[177:178], s[10:11], v[217:218]
	v_fma_f64 v[125:126], v[177:178], s[18:19], v[197:198]
	v_add_f64 v[106:107], v[219:220], v[106:107]
	v_mul_f64 v[219:220], v[199:200], s[26:27]
	v_add_f64 v[114:115], v[213:214], v[114:115]
	v_mul_f64 v[199:200], v[199:200], s[24:25]
	v_add_f64 v[120:121], v[125:126], v[120:121]
	v_fma_f64 v[221:222], v[179:180], s[10:11], v[219:220]
	v_fma_f64 v[213:214], v[179:180], s[10:11], -v[219:220]
	v_fma_f64 v[127:128], v[179:180], s[18:19], -v[199:200]
	v_add_f64 v[104:105], v[221:222], v[104:105]
	v_mul_f64 v[221:222], v[201:202], s[34:35]
	v_add_f64 v[112:113], v[213:214], v[112:113]
	v_mul_f64 v[201:202], v[201:202], s[30:31]
	v_add_f64 v[122:123], v[127:128], v[122:123]
	v_fma_f64 v[223:224], v[181:182], s[28:29], -v[221:222]
	v_fma_f64 v[213:214], v[181:182], s[28:29], v[221:222]
	v_fma_f64 v[129:130], v[181:182], s[10:11], v[201:202]
	v_add_f64 v[106:107], v[223:224], v[106:107]
	v_mul_f64 v[223:224], v[203:204], s[34:35]
	v_add_f64 v[114:115], v[213:214], v[114:115]
	v_mul_f64 v[203:204], v[203:204], s[30:31]
	v_add_f64 v[120:121], v[129:130], v[120:121]
	v_fma_f64 v[225:226], v[183:184], s[28:29], v[223:224]
	v_fma_f64 v[213:214], v[183:184], s[28:29], -v[223:224]
	v_fma_f64 v[131:132], v[183:184], s[10:11], -v[203:204]
	v_add_f64 v[104:105], v[225:226], v[104:105]
	v_mul_f64 v[225:226], v[205:206], s[20:21]
	v_add_f64 v[112:113], v[213:214], v[112:113]
	v_mul_f64 v[205:206], v[205:206], s[22:23]
	v_add_f64 v[122:123], v[131:132], v[122:123]
	v_fma_f64 v[227:228], v[185:186], s[8:9], -v[225:226]
	v_fma_f64 v[213:214], v[185:186], s[8:9], v[225:226]
	v_fma_f64 v[125:126], v[185:186], s[16:17], v[205:206]
	v_add_f64 v[106:107], v[227:228], v[106:107]
	v_mul_f64 v[227:228], v[207:208], s[20:21]
	v_add_f64 v[114:115], v[213:214], v[114:115]
	v_mul_f64 v[207:208], v[207:208], s[22:23]
	v_add_f64 v[120:121], v[125:126], v[120:121]
	v_fma_f64 v[213:214], v[187:188], s[8:9], -v[227:228]
	v_fma_f64 v[229:230], v[187:188], s[8:9], v[227:228]
	v_fma_f64 v[127:128], v[187:188], s[16:17], -v[207:208]
	v_add_f64 v[213:214], v[213:214], v[112:113]
	v_fma_f64 v[112:113], v[163:164], s[16:17], v[231:232]
	v_add_f64 v[229:230], v[229:230], v[104:105]
	v_fma_f64 v[104:105], v[163:164], s[16:17], -v[231:232]
	v_add_f64 v[122:123], v[127:128], v[122:123]
	v_add_f64 v[112:113], v[112:113], v[114:115]
	;; [unrolled: 1-line block ×3, first 2 shown]
	v_fma_f64 v[213:214], v[173:174], s[8:9], -v[193:194]
	v_mul_f64 v[215:216], v[118:119], s[38:39]
	v_add_f64 v[104:105], v[104:105], v[106:107]
	v_fma_f64 v[106:107], v[161:162], s[16:17], v[233:234]
	v_add_f64 v[191:192], v[213:214], v[191:192]
	v_fma_f64 v[213:214], v[175:176], s[8:9], v[195:196]
	v_fma_f64 v[118:119], v[161:162], s[2:3], v[215:216]
	v_fma_f64 v[131:132], v[161:162], s[2:3], -v[215:216]
	v_add_f64 v[106:107], v[106:107], v[229:230]
	v_add_f64 v[189:190], v[213:214], v[189:190]
	v_fma_f64 v[213:214], v[177:178], s[18:19], -v[197:198]
	v_add_f64 v[122:123], v[131:132], v[122:123]
	v_add_f64 v[191:192], v[213:214], v[191:192]
	v_fma_f64 v[213:214], v[179:180], s[18:19], v[199:200]
	v_add_f64 v[189:190], v[213:214], v[189:190]
	v_fma_f64 v[213:214], v[181:182], s[10:11], -v[201:202]
	v_add_f64 v[191:192], v[213:214], v[191:192]
	v_fma_f64 v[213:214], v[183:184], s[10:11], v[203:204]
	v_add_f64 v[189:190], v[213:214], v[189:190]
	v_fma_f64 v[213:214], v[185:186], s[16:17], -v[205:206]
	v_add_f64 v[191:192], v[213:214], v[191:192]
	v_fma_f64 v[213:214], v[187:188], s[16:17], v[207:208]
	v_add_f64 v[189:190], v[213:214], v[189:190]
	v_mul_f64 v[213:214], v[116:117], s[38:39]
	v_add_f64 v[118:119], v[118:119], v[189:190]
	v_fma_f64 v[116:117], v[163:164], s[2:3], -v[213:214]
	v_fma_f64 v[129:130], v[163:164], s[2:3], v[213:214]
	v_add_f64 v[116:117], v[116:117], v[191:192]
	v_add_f64 v[120:121], v[129:130], v[120:121]
	s_and_saveexec_b32 s1, s0
	s_cbranch_execz .LBB0_11
; %bb.10:
	ds_write_b128 v209, v[108:111]
	ds_write_b128 v209, v[88:91] offset:1008
	ds_write_b128 v209, v[92:95] offset:2016
	;; [unrolled: 1-line block ×12, first 2 shown]
.LBB0_11:
	s_or_b32 exec_lo, exec_lo, s1
	s_waitcnt lgkmcnt(0)
	s_barrier
	buffer_gl0_inv
	s_and_saveexec_b32 s2, vcc_lo
	s_cbranch_execz .LBB0_13
; %bb.12:
	v_add_co_u32 v151, s1, s14, v209
	v_add_co_ci_u32_e64 v152, null, s15, 0, s1
	v_add_co_u32 v129, s1, 0x3330, v151
	v_add_co_ci_u32_e64 v130, s1, 0, v152, s1
	v_add_co_u32 v125, s1, 0x3000, v151
	v_add_co_ci_u32_e64 v126, s1, 0, v152, s1
	;; [unrolled: 2-line block ×7, first 2 shown]
	v_add_co_u32 v157, s1, 0x6000, v151
	s_clause 0x5
	global_load_dwordx4 v[125:128], v[125:126], off offset:816
	global_load_dwordx4 v[129:132], v[129:130], off offset:1456
	;; [unrolled: 1-line block ×6, first 2 shown]
	v_add_co_ci_u32_e64 v158, s1, 0, v152, s1
	s_clause 0x2
	global_load_dwordx4 v[149:152], v[149:150], off offset:1360
	global_load_dwordx4 v[153:156], v[153:154], off offset:768
	;; [unrolled: 1-line block ×3, first 2 shown]
	ds_read_b128 v[161:164], v209
	ds_read_b128 v[165:168], v209 offset:1456
	ds_read_b128 v[169:172], v209 offset:2912
	;; [unrolled: 1-line block ×8, first 2 shown]
	s_waitcnt vmcnt(8) lgkmcnt(8)
	v_mul_f64 v[197:198], v[163:164], v[127:128]
	v_mul_f64 v[127:128], v[161:162], v[127:128]
	s_waitcnt vmcnt(7) lgkmcnt(7)
	v_mul_f64 v[199:200], v[167:168], v[131:132]
	v_mul_f64 v[131:132], v[165:166], v[131:132]
	;; [unrolled: 3-line block ×9, first 2 shown]
	v_fma_f64 v[159:160], v[161:162], v[125:126], -v[197:198]
	v_fma_f64 v[161:162], v[163:164], v[125:126], v[127:128]
	v_fma_f64 v[125:126], v[165:166], v[129:130], -v[199:200]
	v_fma_f64 v[127:128], v[167:168], v[129:130], v[131:132]
	;; [unrolled: 2-line block ×9, first 2 shown]
	ds_write_b128 v209, v[159:162]
	ds_write_b128 v209, v[125:128] offset:1456
	ds_write_b128 v209, v[129:132] offset:2912
	;; [unrolled: 1-line block ×8, first 2 shown]
.LBB0_13:
	s_or_b32 exec_lo, exec_lo, s2
	s_waitcnt lgkmcnt(0)
	s_barrier
	buffer_gl0_inv
	s_and_saveexec_b32 s1, vcc_lo
	s_cbranch_execz .LBB0_15
; %bb.14:
	ds_read_b128 v[108:111], v209
	ds_read_b128 v[88:91], v209 offset:1456
	ds_read_b128 v[92:95], v209 offset:2912
	;; [unrolled: 1-line block ×8, first 2 shown]
.LBB0_15:
	s_or_b32 exec_lo, exec_lo, s1
	s_waitcnt lgkmcnt(0)
	v_add_f64 v[129:130], v[88:89], -v[112:113]
	v_add_f64 v[127:128], v[90:91], -v[114:115]
	v_add_f64 v[125:126], v[88:89], v[112:113]
	v_add_f64 v[131:132], v[90:91], v[114:115]
	v_add_f64 v[135:136], v[100:101], -v[104:105]
	v_add_f64 v[133:134], v[102:103], -v[106:107]
	v_add_f64 v[137:138], v[100:101], v[104:105]
	v_add_f64 v[139:140], v[102:103], v[106:107]
	s_mov_b32 s20, 0xa2cf5039
	s_mov_b32 s11, 0x3fe491b7
	;; [unrolled: 1-line block ×4, first 2 shown]
	v_add_f64 v[141:142], v[92:93], v[120:121]
	v_add_f64 v[147:148], v[94:95], v[122:123]
	v_add_f64 v[120:121], v[92:93], -v[120:121]
	v_add_f64 v[122:123], v[94:95], -v[122:123]
	s_mov_b32 s24, 0x8c811c17
	s_mov_b32 s22, 0x7e0b738b
	;; [unrolled: 1-line block ×4, first 2 shown]
	v_add_f64 v[143:144], v[96:97], v[116:117]
	v_add_f64 v[145:146], v[98:99], v[118:119]
	v_mul_f64 v[88:89], v[129:130], s[10:11]
	v_mul_f64 v[90:91], v[127:128], s[10:11]
	v_fma_f64 v[92:93], v[125:126], s[20:21], v[108:109]
	v_fma_f64 v[94:95], v[131:132], s[20:21], v[110:111]
	v_mul_f64 v[112:113], v[135:136], s[10:11]
	v_mul_f64 v[114:115], v[133:134], s[10:11]
	v_fma_f64 v[149:150], v[137:138], s[20:21], v[108:109]
	v_fma_f64 v[151:152], v[139:140], s[20:21], v[110:111]
	v_add_f64 v[116:117], v[96:97], -v[116:117]
	v_add_f64 v[118:119], v[98:99], -v[118:119]
	s_mov_b32 s2, 0xe8584cab
	s_mov_b32 s3, 0x3febb67a
	;; [unrolled: 1-line block ×8, first 2 shown]
	s_barrier
	buffer_gl0_inv
	v_fma_f64 v[88:89], v[120:121], s[24:25], v[88:89]
	v_fma_f64 v[90:91], v[122:123], s[24:25], v[90:91]
	;; [unrolled: 1-line block ×4, first 2 shown]
	v_fma_f64 v[96:97], v[129:130], s[24:25], -v[112:113]
	v_fma_f64 v[98:99], v[127:128], s[24:25], -v[114:115]
	v_fma_f64 v[112:113], v[125:126], s[22:23], v[149:150]
	v_fma_f64 v[114:115], v[131:132], s[22:23], v[151:152]
	;; [unrolled: 1-line block ×4, first 2 shown]
	v_fma_f64 v[92:93], v[143:144], -0.5, v[92:93]
	v_fma_f64 v[94:95], v[145:146], -0.5, v[94:95]
	v_fma_f64 v[96:97], v[116:117], s[8:9], v[96:97]
	v_fma_f64 v[98:99], v[118:119], s[8:9], v[98:99]
	v_fma_f64 v[112:113], v[143:144], -0.5, v[112:113]
	v_fma_f64 v[114:115], v[145:146], -0.5, v[114:115]
	v_fma_f64 v[88:89], v[135:136], s[16:17], v[88:89]
	v_fma_f64 v[90:91], v[133:134], s[16:17], v[90:91]
	;; [unrolled: 1-line block ×8, first 2 shown]
	v_add_f64 v[112:113], v[92:93], -v[90:91]
	v_add_f64 v[114:115], v[88:89], v[94:95]
	v_add_f64 v[96:97], v[96:97], -v[151:152]
	v_add_f64 v[98:99], v[149:150], v[98:99]
	v_fma_f64 v[92:93], v[90:91], 2.0, v[112:113]
	v_fma_f64 v[94:95], v[88:89], -2.0, v[114:115]
	v_fma_f64 v[88:89], v[151:152], 2.0, v[96:97]
	v_fma_f64 v[90:91], v[149:150], -2.0, v[98:99]
	s_and_saveexec_b32 s1, vcc_lo
	s_cbranch_execz .LBB0_17
; %bb.16:
	v_mul_f64 v[149:150], v[135:136], s[24:25]
	v_fma_f64 v[151:152], v[147:148], s[20:21], v[110:111]
	v_mul_f64 v[153:154], v[133:134], s[24:25]
	v_fma_f64 v[155:156], v[141:142], s[20:21], v[108:109]
	v_add_f64 v[147:148], v[147:148], v[131:132]
	v_add_f64 v[141:142], v[141:142], v[125:126]
	s_mov_b32 s11, 0xbfe491b7
	v_mul_f64 v[116:117], v[116:117], s[2:3]
	v_mul_f64 v[118:119], v[118:119], s[2:3]
	v_mul_f64 v[157:158], v[143:144], 0.5
	v_mul_f64 v[159:160], v[145:146], 0.5
	v_add_f64 v[161:162], v[110:111], v[145:146]
	v_add_f64 v[163:164], v[108:109], v[143:144]
	;; [unrolled: 1-line block ×4, first 2 shown]
	v_fma_f64 v[149:150], v[120:121], s[10:11], -v[149:150]
	v_fma_f64 v[151:152], v[139:140], s[22:23], v[151:152]
	v_fma_f64 v[153:154], v[122:123], s[10:11], -v[153:154]
	v_fma_f64 v[155:156], v[137:138], s[22:23], v[155:156]
	v_add_f64 v[145:146], v[145:146], v[147:148]
	v_add_f64 v[143:144], v[143:144], v[141:142]
	;; [unrolled: 1-line block ×4, first 2 shown]
	v_add_f64 v[120:121], v[135:136], -v[120:121]
	v_add_f64 v[122:123], v[133:134], -v[122:123]
	v_add_f64 v[116:117], v[116:117], v[149:150]
	v_add_f64 v[141:142], v[151:152], -v[159:160]
	v_add_f64 v[118:119], v[118:119], v[153:154]
	;; [unrolled: 2-line block ×3, first 2 shown]
	v_add_f64 v[100:101], v[100:101], v[143:144]
	v_fma_f64 v[133:134], v[139:140], -0.5, v[161:162]
	v_fma_f64 v[135:136], v[137:138], -0.5, v[163:164]
	v_fma_f64 v[129:130], v[129:130], s[16:17], v[116:117]
	v_fma_f64 v[116:117], v[131:132], s[18:19], v[141:142]
	;; [unrolled: 1-line block ×4, first 2 shown]
	v_add_f64 v[137:138], v[106:107], v[102:103]
	v_add_f64 v[139:140], v[104:105], v[100:101]
	v_mul_f64 v[125:126], v[120:121], s[2:3]
	v_mul_f64 v[131:132], v[122:123], s[2:3]
	v_fma_f64 v[102:103], v[120:121], s[2:3], v[133:134]
	v_fma_f64 v[100:101], v[122:123], s[8:9], v[135:136]
	v_add_f64 v[106:107], v[129:130], v[116:117]
	v_add_f64 v[104:105], v[118:119], -v[127:128]
	v_add_f64 v[110:111], v[110:111], v[137:138]
	v_add_f64 v[108:109], v[108:109], v[139:140]
	v_fma_f64 v[118:119], v[125:126], -2.0, v[102:103]
	v_fma_f64 v[116:117], v[131:132], 2.0, v[100:101]
	v_mov_b32_e32 v125, 4
	v_lshlrev_b32_sdwa v125, v125, v211 dst_sel:DWORD dst_unused:UNUSED_PAD src0_sel:DWORD src1_sel:WORD_0
	v_fma_f64 v[122:123], v[129:130], -2.0, v[106:107]
	v_fma_f64 v[120:121], v[127:128], 2.0, v[104:105]
	ds_write_b128 v125, v[112:115] offset:16
	ds_write_b128 v125, v[96:99] offset:32
	;; [unrolled: 1-line block ×4, first 2 shown]
	ds_write_b128 v125, v[108:111]
	ds_write_b128 v125, v[104:107] offset:64
	ds_write_b128 v125, v[116:119] offset:96
	;; [unrolled: 1-line block ×4, first 2 shown]
.LBB0_17:
	s_or_b32 exec_lo, exec_lo, s1
	s_waitcnt lgkmcnt(0)
	s_barrier
	buffer_gl0_inv
	ds_read_b128 v[96:99], v209 offset:1872
	ds_read_b128 v[100:103], v209 offset:3744
	;; [unrolled: 1-line block ×6, first 2 shown]
	s_mov_b32 s2, 0x37e14327
	s_mov_b32 s3, 0x3fe948f6
	;; [unrolled: 1-line block ×10, first 2 shown]
	s_waitcnt lgkmcnt(5)
	v_mul_f64 v[120:121], v[46:47], v[98:99]
	v_mul_f64 v[46:47], v[46:47], v[96:97]
	s_waitcnt lgkmcnt(4)
	v_mul_f64 v[122:123], v[42:43], v[102:103]
	v_mul_f64 v[42:43], v[42:43], v[100:101]
	;; [unrolled: 3-line block ×6, first 2 shown]
	v_fma_f64 v[96:97], v[44:45], v[96:97], v[120:121]
	v_fma_f64 v[44:45], v[44:45], v[98:99], -v[46:47]
	v_fma_f64 v[46:47], v[40:41], v[100:101], v[122:123]
	v_fma_f64 v[40:41], v[40:41], v[102:103], -v[42:43]
	v_fma_f64 v[42:43], v[52:53], v[104:105], v[125:126]
	v_fma_f64 v[52:53], v[52:53], v[106:107], -v[54:55]
	v_fma_f64 v[54:55], v[64:65], v[108:109], v[127:128]
	v_fma_f64 v[64:65], v[64:65], v[110:111], -v[66:67]
	v_fma_f64 v[66:67], v[60:61], v[112:113], v[129:130]
	v_fma_f64 v[60:61], v[60:61], v[114:115], -v[62:63]
	v_fma_f64 v[62:63], v[56:57], v[116:117], v[131:132]
	v_fma_f64 v[56:57], v[56:57], v[118:119], -v[58:59]
	v_add_f64 v[58:59], v[96:97], v[42:43]
	v_add_f64 v[98:99], v[44:45], v[52:53]
	;; [unrolled: 1-line block ×4, first 2 shown]
	v_add_f64 v[46:47], v[46:47], -v[54:55]
	v_add_f64 v[54:55], v[40:41], -v[64:65]
	v_add_f64 v[104:105], v[66:67], v[62:63]
	v_add_f64 v[106:107], v[60:61], v[56:57]
	v_add_f64 v[62:63], v[62:63], -v[66:67]
	v_add_f64 v[56:57], v[56:57], -v[60:61]
	;; [unrolled: 1-line block ×4, first 2 shown]
	ds_read_b128 v[40:43], v209
	s_waitcnt lgkmcnt(0)
	s_barrier
	buffer_gl0_inv
	v_add_f64 v[52:53], v[100:101], v[58:59]
	v_add_f64 v[64:65], v[102:103], v[98:99]
	v_add_f64 v[66:67], v[58:59], -v[104:105]
	v_add_f64 v[96:97], v[98:99], -v[106:107]
	;; [unrolled: 1-line block ×10, first 2 shown]
	v_add_f64 v[46:47], v[62:63], v[46:47]
	v_add_f64 v[54:55], v[56:57], v[54:55]
	v_add_f64 v[62:63], v[60:61], -v[62:63]
	v_add_f64 v[56:57], v[44:45], -v[56:57]
	v_add_f64 v[52:53], v[104:105], v[52:53]
	v_add_f64 v[64:65], v[106:107], v[64:65]
	v_mul_f64 v[66:67], v[66:67], s[2:3]
	v_mul_f64 v[96:97], v[96:97], s[2:3]
	s_mov_b32 s2, 0x429ad128
	v_mul_f64 v[100:101], v[108:109], s[8:9]
	v_mul_f64 v[102:103], v[110:111], s[8:9]
	;; [unrolled: 1-line block ×4, first 2 shown]
	s_mov_b32 s3, 0xbfebfeb5
	s_mov_b32 s10, 0xaaaaaaaa
	v_mul_f64 v[112:113], v[116:117], s[2:3]
	v_mul_f64 v[114:115], v[118:119], s[2:3]
	s_mov_b32 s11, 0xbff2aaaa
	v_add_f64 v[46:47], v[46:47], v[60:61]
	v_add_f64 v[44:45], v[54:55], v[44:45]
	;; [unrolled: 1-line block ×4, first 2 shown]
	v_fma_f64 v[54:55], v[108:109], s[8:9], v[66:67]
	v_fma_f64 v[60:61], v[110:111], s[8:9], v[96:97]
	v_fma_f64 v[100:101], v[58:59], s[16:17], -v[100:101]
	v_fma_f64 v[102:103], v[98:99], s[16:17], -v[102:103]
	s_mov_b32 s17, 0xbfe77f67
	v_fma_f64 v[108:109], v[62:63], s[18:19], v[104:105]
	v_fma_f64 v[110:111], v[56:57], s[18:19], v[106:107]
	s_mov_b32 s19, 0x3fd5d0dc
	v_fma_f64 v[104:105], v[116:117], s[2:3], -v[104:105]
	v_fma_f64 v[106:107], v[118:119], s[2:3], -v[106:107]
	;; [unrolled: 1-line block ×6, first 2 shown]
	s_mov_b32 s2, 0x37c3f68c
	s_mov_b32 s3, 0xbfdc38aa
	v_fma_f64 v[52:53], v[52:53], s[10:11], v[40:41]
	v_fma_f64 v[64:65], v[64:65], s[10:11], v[42:43]
	;; [unrolled: 1-line block ×8, first 2 shown]
	v_add_f64 v[112:113], v[54:55], v[52:53]
	v_add_f64 v[114:115], v[60:61], v[64:65]
	;; [unrolled: 1-line block ×7, first 2 shown]
	v_add_f64 v[66:67], v[114:115], -v[108:109]
	v_add_f64 v[96:97], v[44:45], v[54:55]
	v_add_f64 v[98:99], v[116:117], -v[46:47]
	v_add_f64 v[60:61], v[52:53], -v[106:107]
	v_add_f64 v[62:63], v[104:105], v[58:59]
	v_add_f64 v[56:57], v[106:107], v[52:53]
	v_add_f64 v[58:59], v[58:59], -v[104:105]
	v_add_f64 v[52:53], v[54:55], -v[44:45]
	v_add_f64 v[54:55], v[46:47], v[116:117]
	v_add_f64 v[44:45], v[112:113], -v[110:111]
	v_add_f64 v[46:47], v[108:109], v[114:115]
	ds_write_b128 v212, v[40:43]
	ds_write_b128 v212, v[64:67] offset:144
	ds_write_b128 v212, v[96:99] offset:288
	;; [unrolled: 1-line block ×6, first 2 shown]
	s_waitcnt lgkmcnt(0)
	s_barrier
	buffer_gl0_inv
	s_and_saveexec_b32 s1, s0
	s_cbranch_execz .LBB0_19
; %bb.18:
	ds_read_b128 v[40:43], v209
	ds_read_b128 v[64:67], v209 offset:1008
	ds_read_b128 v[96:99], v209 offset:2016
	;; [unrolled: 1-line block ×12, first 2 shown]
.LBB0_19:
	s_or_b32 exec_lo, exec_lo, s1
	s_and_saveexec_b32 s33, s0
	s_cbranch_execz .LBB0_21
; %bb.20:
	s_waitcnt lgkmcnt(11)
	v_mul_f64 v[100:101], v[38:39], v[66:67]
	s_waitcnt lgkmcnt(0)
	v_mul_f64 v[102:103], v[70:71], v[74:75]
	v_mul_f64 v[38:39], v[38:39], v[64:65]
	;; [unrolled: 1-line block ×10, first 2 shown]
	s_mov_b32 s22, 0x4bc48dbf
	s_mov_b32 s23, 0xbfcea1e5
	;; [unrolled: 1-line block ×3, first 2 shown]
	v_mul_f64 v[110:111], v[6:7], v[90:91]
	s_mov_b32 s29, 0x3fddbe06
	s_mov_b32 s28, 0x4267c47c
	;; [unrolled: 1-line block ×3, first 2 shown]
	v_mul_f64 v[108:109], v[2:3], v[46:47]
	s_mov_b32 s26, 0x24c2f84
	s_mov_b32 s27, 0xbfe5384d
	s_mov_b32 s10, 0xe00740e9
	v_fma_f64 v[70:71], v[36:37], v[64:65], v[100:101]
	v_fma_f64 v[30:31], v[68:69], v[72:73], v[102:103]
	v_fma_f64 v[66:67], v[36:37], v[66:67], -v[38:39]
	v_fma_f64 v[36:37], v[68:69], v[74:75], -v[104:105]
	v_mul_f64 v[74:75], v[10:11], v[52:53]
	v_mul_f64 v[100:101], v[26:27], v[62:63]
	;; [unrolled: 1-line block ×5, first 2 shown]
	v_fma_f64 v[50:51], v[28:29], v[96:97], v[106:107]
	v_fma_f64 v[10:11], v[48:49], v[80:81], v[112:113]
	v_fma_f64 v[64:65], v[28:29], v[98:99], -v[114:115]
	v_fma_f64 v[18:19], v[48:49], v[82:83], -v[116:117]
	v_mul_f64 v[68:69], v[14:15], v[58:59]
	v_mul_f64 v[72:73], v[22:23], v[86:87]
	;; [unrolled: 1-line block ×5, first 2 shown]
	s_mov_b32 s11, 0x3fec55a7
	v_fma_f64 v[88:89], v[4:5], v[88:89], v[110:111]
	v_mul_f64 v[2:3], v[2:3], v[44:45]
	v_fma_f64 v[98:99], v[0:1], v[44:45], v[108:109]
	s_mov_b32 s8, 0x66966769
	v_add_f64 v[26:27], v[70:71], -v[30:31]
	s_mov_b32 s18, 0xd0032e0c
	v_add_f64 v[38:39], v[66:67], -v[36:37]
	v_add_f64 v[28:29], v[66:67], v[36:37]
	v_fma_f64 v[60:61], v[24:25], v[60:61], v[100:101]
	v_fma_f64 v[14:15], v[32:33], v[76:77], v[102:103]
	v_fma_f64 v[62:63], v[24:25], v[62:63], -v[104:105]
	v_fma_f64 v[22:23], v[32:33], v[78:79], -v[34:35]
	v_add_f64 v[24:25], v[70:71], v[30:31]
	v_add_f64 v[34:35], v[50:51], -v[10:11]
	v_fma_f64 v[100:101], v[8:9], v[52:53], v[118:119]
	v_add_f64 v[32:33], v[64:65], -v[18:19]
	v_fma_f64 v[104:105], v[12:13], v[56:57], v[68:69]
	v_fma_f64 v[48:49], v[20:21], v[84:85], v[72:73]
	v_fma_f64 v[106:107], v[12:13], v[58:59], -v[80:81]
	v_fma_f64 v[12:13], v[20:21], v[86:87], -v[82:83]
	v_add_f64 v[72:73], v[64:65], v[18:19]
	v_add_f64 v[58:59], v[50:51], v[10:11]
	v_fma_f64 v[68:69], v[16:17], v[92:93], v[120:121]
	v_fma_f64 v[102:103], v[8:9], v[54:55], -v[74:75]
	v_fma_f64 v[74:75], v[16:17], v[94:95], -v[122:123]
	s_mov_b32 s9, 0x3fefc445
	v_mul_f64 v[76:77], v[26:27], s[22:23]
	s_mov_b32 s19, 0xbfe7f3cc
	v_mul_f64 v[78:79], v[38:39], s[22:23]
	v_mul_f64 v[110:111], v[38:39], s[26:27]
	s_mov_b32 s30, 0x42a4c3d2
	v_add_f64 v[86:87], v[60:61], -v[14:15]
	v_add_f64 v[44:45], v[60:61], v[14:15]
	v_add_f64 v[96:97], v[62:63], -v[22:23]
	v_add_f64 v[20:21], v[62:63], v[22:23]
	v_mul_f64 v[56:57], v[34:35], s[28:29]
	s_mov_b32 s31, 0x3fea55e2
	v_mul_f64 v[84:85], v[32:33], s[28:29]
	v_mul_f64 v[108:109], v[26:27], s[26:27]
	v_add_f64 v[80:81], v[104:105], -v[48:49]
	v_mul_f64 v[118:119], v[32:33], s[8:9]
	v_add_f64 v[82:83], v[106:107], -v[12:13]
	v_fma_f64 v[94:95], v[0:1], v[46:47], -v[2:3]
	v_fma_f64 v[92:93], v[4:5], v[90:91], -v[6:7]
	v_add_f64 v[16:17], v[104:105], v[48:49]
	s_mov_b32 s0, 0xebaa3ed8
	s_mov_b32 s1, 0x3fbedb7d
	;; [unrolled: 1-line block ×3, first 2 shown]
	v_fma_f64 v[112:113], v[28:29], s[16:17], v[76:77]
	v_fma_f64 v[76:77], v[28:29], s[16:17], -v[76:77]
	v_fma_f64 v[114:115], v[24:25], s[16:17], -v[78:79]
	v_fma_f64 v[78:79], v[24:25], s[16:17], v[78:79]
	v_fma_f64 v[127:128], v[24:25], s[18:19], -v[110:111]
	v_mul_f64 v[52:53], v[86:87], s[26:27]
	s_mov_b32 s34, s30
	v_mul_f64 v[54:55], v[96:97], s[26:27]
	s_mov_b32 s20, 0x2ef20147
	v_fma_f64 v[120:121], v[72:73], s[10:11], v[56:57]
	v_fma_f64 v[56:57], v[72:73], s[10:11], -v[56:57]
	v_fma_f64 v[122:123], v[58:59], s[10:11], -v[84:85]
	v_fma_f64 v[84:85], v[58:59], s[10:11], v[84:85]
	s_mov_b32 s24, 0x1ea71119
	s_mov_b32 s21, 0xbfedeba7
	v_mul_f64 v[2:3], v[82:83], s[30:31]
	s_mov_b32 s25, 0x3fe22d96
	v_mul_f64 v[116:117], v[34:35], s[8:9]
	v_fma_f64 v[125:126], v[28:29], s[18:19], v[108:109]
	v_add_f64 v[8:9], v[106:107], v[12:13]
	v_mul_f64 v[0:1], v[80:81], s[30:31]
	v_mul_f64 v[133:134], v[96:97], s[34:35]
	v_add_f64 v[112:113], v[42:43], v[112:113]
	v_add_f64 v[129:130], v[42:43], v[76:77]
	;; [unrolled: 1-line block ×4, first 2 shown]
	v_add_f64 v[78:79], v[102:103], -v[74:75]
	v_fma_f64 v[6:7], v[20:21], s[18:19], v[52:53]
	v_fma_f64 v[52:53], v[20:21], s[18:19], -v[52:53]
	v_fma_f64 v[46:47], v[44:45], s[18:19], -v[54:55]
	v_fma_f64 v[135:136], v[44:45], s[18:19], v[54:55]
	v_fma_f64 v[139:140], v[58:59], s[0:1], -v[118:119]
	v_add_f64 v[127:128], v[40:41], v[127:128]
	v_add_f64 v[76:77], v[100:101], -v[68:69]
	v_add_f64 v[90:91], v[94:95], -v[92:93]
	v_fma_f64 v[108:109], v[28:29], s[18:19], -v[108:109]
	s_mov_b32 s39, 0x3fcea1e5
	v_fma_f64 v[147:148], v[16:17], s[24:25], -v[2:3]
	v_fma_f64 v[2:3], v[16:17], s[24:25], v[2:3]
	s_mov_b32 s38, s22
	s_mov_b32 s2, 0xb2365da1
	;; [unrolled: 1-line block ×3, first 2 shown]
	v_mul_f64 v[4:5], v[86:87], s[34:35]
	v_fma_f64 v[137:138], v[72:73], s[0:1], v[116:117]
	v_add_f64 v[112:113], v[120:121], v[112:113]
	v_add_f64 v[120:121], v[56:57], v[129:130]
	v_add_f64 v[114:115], v[122:123], v[114:115]
	v_add_f64 v[122:123], v[84:85], v[131:132]
	v_add_f64 v[56:57], v[100:101], v[68:69]
	v_mul_f64 v[131:132], v[78:79], s[20:21]
	v_add_f64 v[125:126], v[42:43], v[125:126]
	v_mul_f64 v[143:144], v[82:83], s[38:39]
	v_fma_f64 v[145:146], v[8:9], s[24:25], v[0:1]
	v_fma_f64 v[151:152], v[44:45], s[24:25], -v[133:134]
	v_add_f64 v[127:128], v[139:140], v[127:128]
	v_mul_f64 v[153:154], v[26:27], s[20:21]
	v_add_f64 v[54:55], v[102:103], v[74:75]
	v_mul_f64 v[129:130], v[76:77], s[20:21]
	v_fma_f64 v[0:1], v[8:9], s[24:25], -v[0:1]
	v_mul_f64 v[155:156], v[38:39], s[20:21]
	v_fma_f64 v[110:111], v[24:25], s[18:19], v[110:111]
	v_add_f64 v[84:85], v[98:99], -v[88:89]
	v_fma_f64 v[116:117], v[72:73], s[0:1], -v[116:117]
	v_add_f64 v[108:109], v[42:43], v[108:109]
	s_mov_b32 s41, 0x3fe5384d
	s_mov_b32 s40, s26
	v_add_f64 v[6:7], v[6:7], v[112:113]
	v_mul_f64 v[141:142], v[80:81], s[38:39]
	v_add_f64 v[112:113], v[46:47], v[114:115]
	v_add_f64 v[114:115], v[52:53], v[120:121]
	;; [unrolled: 1-line block ×4, first 2 shown]
	v_mul_f64 v[135:136], v[90:91], s[8:9]
	v_fma_f64 v[159:160], v[56:57], s[2:3], -v[131:132]
	v_fma_f64 v[131:132], v[56:57], s[2:3], v[131:132]
	v_fma_f64 v[149:150], v[20:21], s[24:25], v[4:5]
	v_add_f64 v[125:126], v[137:138], v[125:126]
	v_fma_f64 v[163:164], v[16:17], s[16:17], -v[143:144]
	v_add_f64 v[127:128], v[151:152], v[127:128]
	v_fma_f64 v[151:152], v[28:29], s[2:3], v[153:154]
	v_fma_f64 v[157:158], v[54:55], s[2:3], v[129:130]
	v_fma_f64 v[129:130], v[54:55], s[2:3], -v[129:130]
	v_fma_f64 v[167:168], v[24:25], s[2:3], -v[155:156]
	v_fma_f64 v[118:119], v[58:59], s[0:1], v[118:119]
	v_add_f64 v[110:111], v[40:41], v[110:111]
	v_add_f64 v[52:53], v[94:95], v[92:93]
	v_mul_f64 v[122:123], v[84:85], s[8:9]
	v_add_f64 v[108:109], v[116:117], v[108:109]
	v_add_f64 v[6:7], v[145:146], v[6:7]
	v_mul_f64 v[145:146], v[34:35], s[40:41]
	v_add_f64 v[112:113], v[147:148], v[112:113]
	v_add_f64 v[0:1], v[0:1], v[114:115]
	;; [unrolled: 1-line block ×3, first 2 shown]
	v_mul_f64 v[147:148], v[32:33], s[40:41]
	v_fma_f64 v[165:166], v[46:47], s[0:1], -v[135:136]
	v_fma_f64 v[135:136], v[46:47], s[0:1], v[135:136]
	v_fma_f64 v[153:154], v[28:29], s[2:3], -v[153:154]
	s_mov_b32 s37, 0xbfefc445
	s_mov_b32 s36, s8
	v_mul_f64 v[137:138], v[76:77], s[28:29]
	v_mul_f64 v[139:140], v[78:79], s[28:29]
	v_fma_f64 v[161:162], v[8:9], s[16:17], v[141:142]
	v_add_f64 v[125:126], v[149:150], v[125:126]
	v_add_f64 v[127:128], v[163:164], v[127:128]
	v_mul_f64 v[116:117], v[86:87], s[28:29]
	v_add_f64 v[151:152], v[42:43], v[151:152]
	v_add_f64 v[167:168], v[40:41], v[167:168]
	v_fma_f64 v[155:156], v[24:25], s[2:3], v[155:156]
	v_add_f64 v[110:111], v[118:119], v[110:111]
	v_add_f64 v[66:67], v[42:43], v[66:67]
	;; [unrolled: 1-line block ×3, first 2 shown]
	v_fma_f64 v[163:164], v[72:73], s[18:19], v[145:146]
	v_add_f64 v[112:113], v[159:160], v[112:113]
	v_fma_f64 v[159:160], v[20:21], s[24:25], -v[4:5]
	v_add_f64 v[131:132], v[131:132], v[2:3]
	v_add_f64 v[129:130], v[129:130], v[0:1]
	v_fma_f64 v[175:176], v[58:59], s[18:19], -v[147:148]
	v_fma_f64 v[149:150], v[52:53], s[0:1], v[122:123]
	v_fma_f64 v[122:123], v[52:53], s[0:1], -v[122:123]
	v_add_f64 v[6:7], v[157:158], v[6:7]
	v_mul_f64 v[157:158], v[26:27], s[36:37]
	v_fma_f64 v[118:119], v[8:9], s[16:17], -v[141:142]
	v_fma_f64 v[145:146], v[72:73], s[18:19], -v[145:146]
	v_add_f64 v[153:154], v[42:43], v[153:154]
	v_fma_f64 v[169:170], v[54:55], s[10:11], v[137:138]
	v_fma_f64 v[171:172], v[56:57], s[10:11], -v[139:140]
	v_add_f64 v[125:126], v[161:162], v[125:126]
	v_mul_f64 v[161:162], v[96:97], s[28:29]
	v_fma_f64 v[147:148], v[58:59], s[18:19], v[147:148]
	v_add_f64 v[155:156], v[40:41], v[155:156]
	v_fma_f64 v[143:144], v[16:17], s[16:17], v[143:144]
	v_add_f64 v[64:65], v[66:67], v[64:65]
	v_add_f64 v[50:51], v[70:71], v[50:51]
	;; [unrolled: 1-line block ×4, first 2 shown]
	v_fma_f64 v[112:113], v[44:45], s[24:25], v[133:134]
	v_add_f64 v[4:5], v[135:136], v[131:132]
	v_mul_f64 v[131:132], v[38:39], s[36:37]
	v_add_f64 v[108:109], v[159:160], v[108:109]
	v_mul_f64 v[133:134], v[80:81], s[36:37]
	v_fma_f64 v[135:136], v[20:21], s[10:11], v[116:117]
	v_add_f64 v[159:160], v[175:176], v[167:168]
	v_add_f64 v[2:3], v[149:150], v[6:7]
	;; [unrolled: 1-line block ×3, first 2 shown]
	v_mul_f64 v[122:123], v[34:35], s[22:23]
	v_fma_f64 v[116:117], v[20:21], s[10:11], -v[116:117]
	v_add_f64 v[66:67], v[145:146], v[153:154]
	v_add_f64 v[127:128], v[171:172], v[127:128]
	;; [unrolled: 1-line block ×3, first 2 shown]
	s_mov_b32 s43, 0x3fedeba7
	s_mov_b32 s42, s20
	v_mul_f64 v[169:170], v[76:77], s[38:39]
	v_fma_f64 v[129:130], v[28:29], s[0:1], v[157:158]
	v_mul_f64 v[149:150], v[82:83], s[36:37]
	v_add_f64 v[145:146], v[147:148], v[155:156]
	v_add_f64 v[62:63], v[64:65], v[62:63]
	;; [unrolled: 1-line block ×4, first 2 shown]
	v_fma_f64 v[112:113], v[54:55], s[10:11], -v[137:138]
	v_mul_f64 v[137:138], v[32:33], s[22:23]
	v_fma_f64 v[167:168], v[24:25], s[0:1], -v[131:132]
	v_add_f64 v[70:71], v[118:119], v[108:109]
	v_fma_f64 v[108:109], v[28:29], s[0:1], -v[157:158]
	v_fma_f64 v[171:172], v[8:9], s[0:1], v[133:134]
	v_add_f64 v[135:136], v[135:136], v[141:142]
	v_fma_f64 v[118:119], v[44:45], s[10:11], v[161:162]
	v_mul_f64 v[163:164], v[86:87], s[42:43]
	v_fma_f64 v[64:65], v[72:73], s[16:17], -v[122:123]
	v_add_f64 v[60:61], v[116:117], v[66:67]
	v_fma_f64 v[151:152], v[44:45], s[10:11], -v[161:162]
	v_mul_f64 v[141:142], v[78:79], s[38:39]
	v_fma_f64 v[133:134], v[8:9], s[0:1], -v[133:134]
	v_fma_f64 v[165:166], v[72:73], s[16:17], v[122:123]
	v_fma_f64 v[161:162], v[54:55], s[16:17], v[169:170]
	v_add_f64 v[129:130], v[42:43], v[129:130]
	v_fma_f64 v[175:176], v[16:17], s[0:1], -v[149:150]
	v_mul_f64 v[147:148], v[80:81], s[28:29]
	v_add_f64 v[62:63], v[62:63], v[106:107]
	v_add_f64 v[50:51], v[50:51], v[104:105]
	;; [unrolled: 1-line block ×3, first 2 shown]
	v_mul_f64 v[143:144], v[96:97], s[42:43]
	v_fma_f64 v[155:156], v[58:59], s[16:17], -v[137:138]
	v_add_f64 v[157:158], v[40:41], v[167:168]
	v_add_f64 v[70:71], v[112:113], v[70:71]
	;; [unrolled: 1-line block ×3, first 2 shown]
	v_fma_f64 v[108:109], v[16:17], s[0:1], v[149:150]
	v_add_f64 v[135:136], v[171:172], v[135:136]
	v_add_f64 v[116:117], v[118:119], v[145:146]
	v_mul_f64 v[112:113], v[82:83], s[28:29]
	v_fma_f64 v[104:105], v[20:21], s[2:3], -v[163:164]
	v_fma_f64 v[153:154], v[20:21], s[2:3], v[163:164]
	v_add_f64 v[151:152], v[151:152], v[159:160]
	v_fma_f64 v[167:168], v[56:57], s[16:17], -v[141:142]
	v_add_f64 v[60:61], v[133:134], v[60:61]
	v_mul_f64 v[118:119], v[76:77], s[34:35]
	v_mul_f64 v[133:134], v[78:79], s[34:35]
	v_add_f64 v[129:130], v[165:166], v[129:130]
	v_mul_f64 v[165:166], v[90:91], s[30:31]
	v_fma_f64 v[122:123], v[8:9], s[10:11], v[147:148]
	v_add_f64 v[62:63], v[62:63], v[102:103]
	v_add_f64 v[50:51], v[50:51], v[100:101]
	v_fma_f64 v[147:148], v[8:9], s[10:11], -v[147:148]
	v_fma_f64 v[145:146], v[44:45], s[2:3], -v[143:144]
	v_fma_f64 v[143:144], v[44:45], s[2:3], v[143:144]
	v_add_f64 v[149:150], v[155:156], v[157:158]
	v_mul_f64 v[157:158], v[84:85], s[28:29]
	v_add_f64 v[64:65], v[64:65], v[66:67]
	v_fma_f64 v[155:156], v[54:55], s[16:17], -v[169:170]
	v_add_f64 v[135:136], v[161:162], v[135:136]
	v_mul_f64 v[161:162], v[90:91], s[28:29]
	s_mov_b32 s29, 0xbfddbe06
	v_fma_f64 v[66:67], v[56:57], s[16:17], v[141:142]
	v_add_f64 v[106:107], v[108:109], v[116:117]
	v_fma_f64 v[116:117], v[24:25], s[0:1], v[131:132]
	v_fma_f64 v[141:142], v[16:17], s[10:11], -v[112:113]
	v_mul_f64 v[100:101], v[38:39], s[28:29]
	v_mul_f64 v[38:39], v[38:39], s[34:35]
	v_add_f64 v[151:152], v[175:176], v[151:152]
	v_add_f64 v[129:130], v[153:154], v[129:130]
	v_fma_f64 v[153:154], v[46:47], s[24:25], -v[165:166]
	v_fma_f64 v[102:103], v[46:47], s[24:25], v[165:166]
	v_add_f64 v[62:63], v[62:63], v[94:95]
	v_add_f64 v[50:51], v[50:51], v[98:99]
	v_mul_f64 v[165:166], v[32:33], s[20:21]
	v_mul_f64 v[32:33], v[32:33], s[34:35]
	v_fma_f64 v[112:113], v[16:17], s[10:11], v[112:113]
	v_add_f64 v[145:146], v[145:146], v[149:150]
	v_mul_f64 v[149:150], v[26:27], s[34:35]
	v_mul_f64 v[26:27], v[26:27], s[28:29]
	v_add_f64 v[64:65], v[104:105], v[64:65]
	v_add_f64 v[60:61], v[155:156], v[60:61]
	v_fma_f64 v[104:105], v[58:59], s[16:17], v[137:138]
	v_mul_f64 v[155:156], v[34:35], s[20:21]
	v_mul_f64 v[34:35], v[34:35], s[34:35]
	;; [unrolled: 1-line block ×3, first 2 shown]
	v_add_f64 v[116:117], v[40:41], v[116:117]
	v_fma_f64 v[131:132], v[54:55], s[24:25], v[118:119]
	v_fma_f64 v[94:95], v[24:25], s[10:11], v[100:101]
	;; [unrolled: 1-line block ×3, first 2 shown]
	v_fma_f64 v[38:39], v[24:25], s[24:25], -v[38:39]
	v_fma_f64 v[24:25], v[24:25], s[10:11], -v[100:101]
	v_add_f64 v[151:152], v[167:168], v[151:152]
	v_fma_f64 v[118:119], v[54:55], s[24:25], -v[118:119]
	v_add_f64 v[62:63], v[62:63], v[92:93]
	v_add_f64 v[50:51], v[50:51], v[88:89]
	;; [unrolled: 1-line block ×3, first 2 shown]
	v_fma_f64 v[169:170], v[58:59], s[24:25], v[32:33]
	v_fma_f64 v[32:33], v[58:59], s[24:25], -v[32:33]
	v_add_f64 v[141:142], v[141:142], v[145:146]
	v_fma_f64 v[163:164], v[28:29], s[24:25], -v[149:150]
	v_fma_f64 v[145:146], v[28:29], s[10:11], -v[26:27]
	v_add_f64 v[64:65], v[147:148], v[64:65]
	v_fma_f64 v[147:148], v[28:29], s[24:25], v[149:150]
	v_fma_f64 v[26:27], v[28:29], s[10:11], v[26:27]
	v_fma_f64 v[100:101], v[72:73], s[2:3], -v[155:156]
	v_fma_f64 v[167:168], v[72:73], s[24:25], -v[34:35]
	v_mul_f64 v[28:29], v[96:97], s[22:23]
	v_add_f64 v[104:105], v[104:105], v[116:117]
	v_mul_f64 v[116:117], v[86:87], s[22:23]
	v_mul_f64 v[86:87], v[86:87], s[36:37]
	;; [unrolled: 1-line block ×3, first 2 shown]
	v_add_f64 v[88:89], v[40:41], v[94:95]
	v_add_f64 v[92:93], v[40:41], v[98:99]
	v_fma_f64 v[98:99], v[72:73], s[2:3], v[155:156]
	v_add_f64 v[38:39], v[40:41], v[38:39]
	v_fma_f64 v[34:35], v[72:73], s[24:25], v[34:35]
	v_add_f64 v[24:25], v[40:41], v[24:25]
	v_mul_f64 v[94:95], v[80:81], s[40:41]
	v_mul_f64 v[155:156], v[82:83], s[40:41]
	;; [unrolled: 1-line block ×4, first 2 shown]
	v_add_f64 v[149:150], v[42:43], v[163:164]
	v_add_f64 v[145:146], v[42:43], v[145:146]
	v_fma_f64 v[163:164], v[58:59], s[2:3], v[165:166]
	v_add_f64 v[147:148], v[42:43], v[147:148]
	v_fma_f64 v[165:166], v[58:59], s[2:3], -v[165:166]
	v_add_f64 v[26:27], v[42:43], v[26:27]
	v_add_f64 v[62:63], v[62:63], v[74:75]
	;; [unrolled: 1-line block ×3, first 2 shown]
	v_fma_f64 v[58:59], v[44:45], s[16:17], v[28:29]
	v_fma_f64 v[40:41], v[20:21], s[16:17], -v[116:117]
	v_fma_f64 v[82:83], v[20:21], s[0:1], -v[86:87]
	;; [unrolled: 1-line block ×3, first 2 shown]
	v_add_f64 v[68:69], v[169:170], v[88:89]
	v_mul_f64 v[88:89], v[76:77], s[8:9]
	v_mul_f64 v[129:130], v[90:91], s[26:27]
	v_fma_f64 v[139:140], v[56:57], s[10:11], v[139:140]
	v_mul_f64 v[159:160], v[84:85], s[30:31]
	v_add_f64 v[24:25], v[32:33], v[24:25]
	v_fma_f64 v[32:33], v[8:9], s[18:19], -v[94:95]
	v_mul_f64 v[114:115], v[84:85], s[20:21]
	v_mul_f64 v[120:121], v[90:91], s[20:21]
	v_fma_f64 v[137:138], v[56:57], s[24:25], -v[133:134]
	v_add_f64 v[42:43], v[100:101], v[149:150]
	v_add_f64 v[100:101], v[167:168], v[145:146]
	v_fma_f64 v[145:146], v[44:45], s[0:1], v[96:97]
	v_add_f64 v[74:75], v[163:164], v[92:93]
	v_fma_f64 v[92:93], v[20:21], s[16:17], v[116:117]
	v_add_f64 v[98:99], v[98:99], v[147:148]
	v_add_f64 v[38:39], v[165:166], v[38:39]
	v_fma_f64 v[20:21], v[20:21], s[0:1], v[86:87]
	v_add_f64 v[26:27], v[34:35], v[26:27]
	v_fma_f64 v[34:35], v[44:45], s[0:1], -v[96:97]
	v_mul_f64 v[116:117], v[78:79], s[8:9]
	v_mul_f64 v[44:45], v[76:77], s[26:27]
	;; [unrolled: 1-line block ×3, first 2 shown]
	v_fma_f64 v[78:79], v[8:9], s[2:3], -v[72:73]
	v_add_f64 v[12:13], v[62:63], v[12:13]
	v_add_f64 v[48:49], v[50:51], v[48:49]
	v_fma_f64 v[86:87], v[16:17], s[2:3], v[80:81]
	v_add_f64 v[62:63], v[143:144], v[104:105]
	v_add_f64 v[110:111], v[139:140], v[110:111]
	v_fma_f64 v[139:140], v[52:53], s[24:25], v[159:160]
	v_fma_f64 v[159:160], v[52:53], s[24:25], -v[159:160]
	v_add_f64 v[66:67], v[66:67], v[106:107]
	v_add_f64 v[40:41], v[40:41], v[42:43]
	;; [unrolled: 1-line block ×4, first 2 shown]
	v_fma_f64 v[42:43], v[16:17], s[18:19], v[155:156]
	v_add_f64 v[58:59], v[58:59], v[74:75]
	v_fma_f64 v[74:75], v[8:9], s[18:19], v[94:95]
	v_add_f64 v[92:93], v[92:93], v[98:99]
	v_fma_f64 v[94:95], v[16:17], s[18:19], -v[155:156]
	v_add_f64 v[28:29], v[28:29], v[38:39]
	v_fma_f64 v[8:9], v[8:9], s[2:3], v[72:73]
	v_add_f64 v[20:21], v[20:21], v[26:27]
	v_fma_f64 v[16:17], v[16:17], s[2:3], -v[80:81]
	v_add_f64 v[24:25], v[34:35], v[24:25]
	v_fma_f64 v[72:73], v[54:55], s[18:19], -v[44:45]
	v_add_f64 v[12:13], v[12:13], v[22:23]
	v_add_f64 v[14:15], v[48:49], v[14:15]
	v_fma_f64 v[26:27], v[54:55], s[0:1], -v[88:89]
	v_mul_f64 v[38:39], v[84:85], s[22:23]
	v_fma_f64 v[80:81], v[56:57], s[18:19], v[76:77]
	v_fma_f64 v[34:35], v[56:57], s[0:1], v[116:117]
	;; [unrolled: 1-line block ×3, first 2 shown]
	v_add_f64 v[48:49], v[112:113], v[62:63]
	v_add_f64 v[32:33], v[32:33], v[40:41]
	;; [unrolled: 1-line block ×3, first 2 shown]
	v_mul_f64 v[40:41], v[90:91], s[22:23]
	v_add_f64 v[22:23], v[86:87], v[50:51]
	v_add_f64 v[42:43], v[42:43], v[58:59]
	v_fma_f64 v[58:59], v[54:55], s[0:1], v[88:89]
	v_add_f64 v[62:63], v[74:75], v[92:93]
	v_fma_f64 v[74:75], v[56:57], s[0:1], -v[116:117]
	v_add_f64 v[28:29], v[94:95], v[28:29]
	v_fma_f64 v[44:45], v[54:55], s[18:19], v[44:45]
	v_add_f64 v[8:9], v[8:9], v[20:21]
	v_fma_f64 v[20:21], v[56:57], s[18:19], -v[76:77]
	v_add_f64 v[16:17], v[16:17], v[24:25]
	v_fma_f64 v[50:51], v[52:53], s[18:19], -v[108:109]
	v_add_f64 v[24:25], v[118:119], v[64:65]
	v_add_f64 v[82:83], v[14:15], v[10:11]
	v_fma_f64 v[56:57], v[52:53], s[10:11], -v[157:158]
	v_fma_f64 v[64:65], v[46:47], s[10:11], v[161:162]
	v_fma_f64 v[54:55], v[46:47], s[18:19], v[129:130]
	;; [unrolled: 1-line block ×3, first 2 shown]
	v_fma_f64 v[177:178], v[46:47], s[2:3], -v[120:121]
	v_add_f64 v[48:49], v[68:69], v[48:49]
	v_add_f64 v[26:27], v[26:27], v[32:33]
	;; [unrolled: 1-line block ×4, first 2 shown]
	v_fma_f64 v[32:33], v[52:53], s[16:17], -v[38:39]
	v_fma_f64 v[76:77], v[46:47], s[16:17], v[40:41]
	v_add_f64 v[80:81], v[80:81], v[22:23]
	v_add_f64 v[42:43], v[34:35], v[42:43]
	v_fma_f64 v[114:115], v[52:53], s[2:3], -v[114:115]
	v_fma_f64 v[120:121], v[46:47], s[2:3], v[120:121]
	v_fma_f64 v[106:107], v[52:53], s[18:19], v[108:109]
	v_add_f64 v[122:123], v[131:132], v[122:123]
	v_fma_f64 v[131:132], v[46:47], s[18:19], -v[129:130]
	v_add_f64 v[68:69], v[137:138], v[141:142]
	v_fma_f64 v[84:85], v[52:53], s[10:11], v[157:158]
	v_add_f64 v[58:59], v[58:59], v[62:63]
	v_fma_f64 v[62:63], v[46:47], s[10:11], -v[161:162]
	v_add_f64 v[28:29], v[74:75], v[28:29]
	;; [unrolled: 4-line block ×3, first 2 shown]
	v_add_f64 v[34:35], v[82:83], v[30:31]
	v_add_f64 v[22:23], v[50:51], v[24:25]
	;; [unrolled: 1-line block ×22, first 2 shown]
	ds_write_b128 v209, v[34:37]
	ds_write_b128 v209, v[30:33] offset:1008
	ds_write_b128 v209, v[24:27] offset:2016
	;; [unrolled: 1-line block ×12, first 2 shown]
.LBB0_21:
	s_or_b32 exec_lo, exec_lo, s33
	s_waitcnt lgkmcnt(0)
	s_barrier
	buffer_gl0_inv
	s_and_b32 exec_lo, exec_lo, vcc_lo
	s_cbranch_execz .LBB0_23
; %bb.22:
	v_add_co_u32 v24, s0, s14, v209
	v_add_co_ci_u32_e64 v25, null, s15, 0, s0
	global_load_dwordx4 v[0:3], v209, s[14:15]
	v_add_co_u32 v8, vcc_lo, 0x800, v24
	v_add_co_ci_u32_e32 v9, vcc_lo, 0, v25, vcc_lo
	v_add_co_u32 v16, vcc_lo, 0x1000, v24
	v_add_co_ci_u32_e32 v17, vcc_lo, 0, v25, vcc_lo
	;; [unrolled: 2-line block ×4, first 2 shown]
	v_add_co_u32 v32, vcc_lo, 0x2800, v24
	s_clause 0x4
	global_load_dwordx4 v[4:7], v209, s[14:15] offset:1456
	global_load_dwordx4 v[8:11], v[8:9], off offset:864
	global_load_dwordx4 v[12:15], v[16:17], off offset:272
	;; [unrolled: 1-line block ×4, first 2 shown]
	v_add_co_ci_u32_e32 v33, vcc_lo, 0, v25, vcc_lo
	s_clause 0x2
	global_load_dwordx4 v[24:27], v[28:29], off offset:544
	global_load_dwordx4 v[28:31], v[28:29], off offset:2000
	;; [unrolled: 1-line block ×3, first 2 shown]
	v_mad_u64_u32 v[44:45], null, s6, v124, 0
	v_mad_u64_u32 v[52:53], null, s4, v210, 0
	s_mul_i32 s2, s5, 0x5b0
	s_mul_hi_u32 s3, s4, 0x5b0
	s_mulk_i32 s4, 0x5b0
	s_add_i32 s3, s3, s2
	v_mov_b32_e32 v36, v45
	s_mov_b32 s0, 0x14014014
	v_mov_b32_e32 v37, v53
	s_mov_b32 s1, 0x3f540140
	v_mad_u64_u32 v[38:39], null, s7, v124, v[36:37]
	v_mad_u64_u32 v[46:47], null, s5, v210, v[37:38]
	v_mov_b32_e32 v45, v38
	ds_read_b128 v[36:39], v209
	ds_read_b128 v[40:43], v209 offset:1456
	v_lshlrev_b64 v[54:55], 4, v[44:45]
	v_mov_b32_e32 v53, v46
	ds_read_b128 v[44:47], v209 offset:2912
	ds_read_b128 v[48:51], v209 offset:4368
	v_lshlrev_b64 v[60:61], 4, v[52:53]
	v_add_co_u32 v62, vcc_lo, s12, v54
	v_add_co_ci_u32_e32 v63, vcc_lo, s13, v55, vcc_lo
	ds_read_b128 v[52:55], v209 offset:5824
	ds_read_b128 v[56:59], v209 offset:7280
	v_add_co_u32 v72, vcc_lo, v62, v60
	v_add_co_ci_u32_e32 v73, vcc_lo, v63, v61, vcc_lo
	ds_read_b128 v[60:63], v209 offset:8736
	ds_read_b128 v[64:67], v209 offset:10192
	;; [unrolled: 1-line block ×3, first 2 shown]
	v_add_co_u32 v74, vcc_lo, v72, s4
	v_add_co_ci_u32_e32 v75, vcc_lo, s3, v73, vcc_lo
	v_add_co_u32 v76, vcc_lo, v74, s4
	v_add_co_ci_u32_e32 v77, vcc_lo, s3, v75, vcc_lo
	;; [unrolled: 2-line block ×4, first 2 shown]
	s_waitcnt vmcnt(8) lgkmcnt(8)
	v_mul_f64 v[80:81], v[38:39], v[2:3]
	v_mul_f64 v[2:3], v[36:37], v[2:3]
	s_waitcnt vmcnt(7) lgkmcnt(7)
	v_mul_f64 v[82:83], v[42:43], v[6:7]
	v_mul_f64 v[6:7], v[40:41], v[6:7]
	;; [unrolled: 3-line block ×9, first 2 shown]
	v_fma_f64 v[36:37], v[36:37], v[0:1], v[80:81]
	v_fma_f64 v[2:3], v[0:1], v[38:39], -v[2:3]
	v_fma_f64 v[38:39], v[40:41], v[4:5], v[82:83]
	v_fma_f64 v[6:7], v[4:5], v[42:43], -v[6:7]
	;; [unrolled: 2-line block ×9, first 2 shown]
	v_mul_f64 v[0:1], v[36:37], s[0:1]
	v_mul_f64 v[2:3], v[2:3], s[0:1]
	v_add_co_u32 v54, vcc_lo, v98, s4
	v_add_co_ci_u32_e32 v55, vcc_lo, s3, v99, vcc_lo
	v_mul_f64 v[4:5], v[38:39], s[0:1]
	v_mul_f64 v[6:7], v[6:7], s[0:1]
	;; [unrolled: 1-line block ×16, first 2 shown]
	v_add_co_u32 v36, vcc_lo, v54, s4
	v_add_co_ci_u32_e32 v37, vcc_lo, s3, v55, vcc_lo
	v_add_co_u32 v38, vcc_lo, v36, s4
	v_add_co_ci_u32_e32 v39, vcc_lo, s3, v37, vcc_lo
	;; [unrolled: 2-line block ×3, first 2 shown]
	global_store_dwordx4 v[72:73], v[0:3], off
	global_store_dwordx4 v[74:75], v[4:7], off
	;; [unrolled: 1-line block ×9, first 2 shown]
.LBB0_23:
	s_endpgm
	.section	.rodata,"a",@progbits
	.p2align	6, 0x0
	.amdhsa_kernel bluestein_single_fwd_len819_dim1_dp_op_CI_CI
		.amdhsa_group_segment_fixed_size 13104
		.amdhsa_private_segment_fixed_size 0
		.amdhsa_kernarg_size 104
		.amdhsa_user_sgpr_count 6
		.amdhsa_user_sgpr_private_segment_buffer 1
		.amdhsa_user_sgpr_dispatch_ptr 0
		.amdhsa_user_sgpr_queue_ptr 0
		.amdhsa_user_sgpr_kernarg_segment_ptr 1
		.amdhsa_user_sgpr_dispatch_id 0
		.amdhsa_user_sgpr_flat_scratch_init 0
		.amdhsa_user_sgpr_private_segment_size 0
		.amdhsa_wavefront_size32 1
		.amdhsa_uses_dynamic_stack 0
		.amdhsa_system_sgpr_private_segment_wavefront_offset 0
		.amdhsa_system_sgpr_workgroup_id_x 1
		.amdhsa_system_sgpr_workgroup_id_y 0
		.amdhsa_system_sgpr_workgroup_id_z 0
		.amdhsa_system_sgpr_workgroup_info 0
		.amdhsa_system_vgpr_workitem_id 0
		.amdhsa_next_free_vgpr 235
		.amdhsa_next_free_sgpr 44
		.amdhsa_reserve_vcc 1
		.amdhsa_reserve_flat_scratch 0
		.amdhsa_float_round_mode_32 0
		.amdhsa_float_round_mode_16_64 0
		.amdhsa_float_denorm_mode_32 3
		.amdhsa_float_denorm_mode_16_64 3
		.amdhsa_dx10_clamp 1
		.amdhsa_ieee_mode 1
		.amdhsa_fp16_overflow 0
		.amdhsa_workgroup_processor_mode 1
		.amdhsa_memory_ordered 1
		.amdhsa_forward_progress 0
		.amdhsa_shared_vgpr_count 0
		.amdhsa_exception_fp_ieee_invalid_op 0
		.amdhsa_exception_fp_denorm_src 0
		.amdhsa_exception_fp_ieee_div_zero 0
		.amdhsa_exception_fp_ieee_overflow 0
		.amdhsa_exception_fp_ieee_underflow 0
		.amdhsa_exception_fp_ieee_inexact 0
		.amdhsa_exception_int_div_zero 0
	.end_amdhsa_kernel
	.text
.Lfunc_end0:
	.size	bluestein_single_fwd_len819_dim1_dp_op_CI_CI, .Lfunc_end0-bluestein_single_fwd_len819_dim1_dp_op_CI_CI
                                        ; -- End function
	.section	.AMDGPU.csdata,"",@progbits
; Kernel info:
; codeLenInByte = 16224
; NumSgprs: 46
; NumVgprs: 235
; ScratchSize: 0
; MemoryBound: 0
; FloatMode: 240
; IeeeMode: 1
; LDSByteSize: 13104 bytes/workgroup (compile time only)
; SGPRBlocks: 5
; VGPRBlocks: 29
; NumSGPRsForWavesPerEU: 46
; NumVGPRsForWavesPerEU: 235
; Occupancy: 4
; WaveLimiterHint : 1
; COMPUTE_PGM_RSRC2:SCRATCH_EN: 0
; COMPUTE_PGM_RSRC2:USER_SGPR: 6
; COMPUTE_PGM_RSRC2:TRAP_HANDLER: 0
; COMPUTE_PGM_RSRC2:TGID_X_EN: 1
; COMPUTE_PGM_RSRC2:TGID_Y_EN: 0
; COMPUTE_PGM_RSRC2:TGID_Z_EN: 0
; COMPUTE_PGM_RSRC2:TIDIG_COMP_CNT: 0
	.text
	.p2alignl 6, 3214868480
	.fill 48, 4, 3214868480
	.type	__hip_cuid_587bb58d36b9ff8b,@object ; @__hip_cuid_587bb58d36b9ff8b
	.section	.bss,"aw",@nobits
	.globl	__hip_cuid_587bb58d36b9ff8b
__hip_cuid_587bb58d36b9ff8b:
	.byte	0                               ; 0x0
	.size	__hip_cuid_587bb58d36b9ff8b, 1

	.ident	"AMD clang version 19.0.0git (https://github.com/RadeonOpenCompute/llvm-project roc-6.4.0 25133 c7fe45cf4b819c5991fe208aaa96edf142730f1d)"
	.section	".note.GNU-stack","",@progbits
	.addrsig
	.addrsig_sym __hip_cuid_587bb58d36b9ff8b
	.amdgpu_metadata
---
amdhsa.kernels:
  - .args:
      - .actual_access:  read_only
        .address_space:  global
        .offset:         0
        .size:           8
        .value_kind:     global_buffer
      - .actual_access:  read_only
        .address_space:  global
        .offset:         8
        .size:           8
        .value_kind:     global_buffer
      - .actual_access:  read_only
        .address_space:  global
        .offset:         16
        .size:           8
        .value_kind:     global_buffer
      - .actual_access:  read_only
        .address_space:  global
        .offset:         24
        .size:           8
        .value_kind:     global_buffer
      - .actual_access:  read_only
        .address_space:  global
        .offset:         32
        .size:           8
        .value_kind:     global_buffer
      - .offset:         40
        .size:           8
        .value_kind:     by_value
      - .address_space:  global
        .offset:         48
        .size:           8
        .value_kind:     global_buffer
      - .address_space:  global
        .offset:         56
        .size:           8
        .value_kind:     global_buffer
      - .address_space:  global
        .offset:         64
        .size:           8
        .value_kind:     global_buffer
      - .address_space:  global
        .offset:         72
        .size:           8
        .value_kind:     global_buffer
      - .offset:         80
        .size:           4
        .value_kind:     by_value
      - .address_space:  global
        .offset:         88
        .size:           8
        .value_kind:     global_buffer
      - .address_space:  global
        .offset:         96
        .size:           8
        .value_kind:     global_buffer
    .group_segment_fixed_size: 13104
    .kernarg_segment_align: 8
    .kernarg_segment_size: 104
    .language:       OpenCL C
    .language_version:
      - 2
      - 0
    .max_flat_workgroup_size: 117
    .name:           bluestein_single_fwd_len819_dim1_dp_op_CI_CI
    .private_segment_fixed_size: 0
    .sgpr_count:     46
    .sgpr_spill_count: 0
    .symbol:         bluestein_single_fwd_len819_dim1_dp_op_CI_CI.kd
    .uniform_work_group_size: 1
    .uses_dynamic_stack: false
    .vgpr_count:     235
    .vgpr_spill_count: 0
    .wavefront_size: 32
    .workgroup_processor_mode: 1
amdhsa.target:   amdgcn-amd-amdhsa--gfx1030
amdhsa.version:
  - 1
  - 2
...

	.end_amdgpu_metadata
